;; amdgpu-corpus repo=ROCm/rocFFT kind=compiled arch=gfx1201 opt=O3
	.text
	.amdgcn_target "amdgcn-amd-amdhsa--gfx1201"
	.amdhsa_code_object_version 6
	.protected	fft_rtc_fwd_len1890_factors_2_3_3_3_7_5_wgs_126_tpt_126_halfLds_sp_ip_CI_unitstride_sbrr_C2R_dirReg ; -- Begin function fft_rtc_fwd_len1890_factors_2_3_3_3_7_5_wgs_126_tpt_126_halfLds_sp_ip_CI_unitstride_sbrr_C2R_dirReg
	.globl	fft_rtc_fwd_len1890_factors_2_3_3_3_7_5_wgs_126_tpt_126_halfLds_sp_ip_CI_unitstride_sbrr_C2R_dirReg
	.p2align	8
	.type	fft_rtc_fwd_len1890_factors_2_3_3_3_7_5_wgs_126_tpt_126_halfLds_sp_ip_CI_unitstride_sbrr_C2R_dirReg,@function
fft_rtc_fwd_len1890_factors_2_3_3_3_7_5_wgs_126_tpt_126_halfLds_sp_ip_CI_unitstride_sbrr_C2R_dirReg: ; @fft_rtc_fwd_len1890_factors_2_3_3_3_7_5_wgs_126_tpt_126_halfLds_sp_ip_CI_unitstride_sbrr_C2R_dirReg
; %bb.0:
	s_clause 0x2
	s_load_b128 s[4:7], s[0:1], 0x0
	s_load_b64 s[8:9], s[0:1], 0x50
	s_load_b64 s[10:11], s[0:1], 0x18
	v_mul_u32_u24_e32 v1, 0x209, v0
	v_mov_b32_e32 v3, 0
	s_delay_alu instid0(VALU_DEP_2) | instskip(NEXT) | instid1(VALU_DEP_1)
	v_lshrrev_b32_e32 v1, 16, v1
	v_add_nc_u32_e32 v5, ttmp9, v1
	v_mov_b32_e32 v1, 0
	v_mov_b32_e32 v2, 0
	;; [unrolled: 1-line block ×3, first 2 shown]
	s_wait_kmcnt 0x0
	v_cmp_lt_u64_e64 s2, s[6:7], 2
	s_delay_alu instid0(VALU_DEP_1)
	s_and_b32 vcc_lo, exec_lo, s2
	s_cbranch_vccnz .LBB0_8
; %bb.1:
	s_load_b64 s[2:3], s[0:1], 0x10
	v_mov_b32_e32 v1, 0
	v_mov_b32_e32 v2, 0
	s_add_nc_u64 s[12:13], s[10:11], 8
	s_mov_b64 s[14:15], 1
	s_wait_kmcnt 0x0
	s_add_nc_u64 s[16:17], s[2:3], 8
	s_mov_b32 s3, 0
.LBB0_2:                                ; =>This Inner Loop Header: Depth=1
	s_load_b64 s[18:19], s[16:17], 0x0
                                        ; implicit-def: $vgpr7_vgpr8
	s_mov_b32 s2, exec_lo
	s_wait_kmcnt 0x0
	v_or_b32_e32 v4, s19, v6
	s_delay_alu instid0(VALU_DEP_1)
	v_cmpx_ne_u64_e32 0, v[3:4]
	s_wait_alu 0xfffe
	s_xor_b32 s20, exec_lo, s2
	s_cbranch_execz .LBB0_4
; %bb.3:                                ;   in Loop: Header=BB0_2 Depth=1
	s_cvt_f32_u32 s2, s18
	s_cvt_f32_u32 s21, s19
	s_sub_nc_u64 s[24:25], 0, s[18:19]
	s_wait_alu 0xfffe
	s_delay_alu instid0(SALU_CYCLE_1) | instskip(SKIP_1) | instid1(SALU_CYCLE_2)
	s_fmamk_f32 s2, s21, 0x4f800000, s2
	s_wait_alu 0xfffe
	v_s_rcp_f32 s2, s2
	s_delay_alu instid0(TRANS32_DEP_1) | instskip(SKIP_1) | instid1(SALU_CYCLE_2)
	s_mul_f32 s2, s2, 0x5f7ffffc
	s_wait_alu 0xfffe
	s_mul_f32 s21, s2, 0x2f800000
	s_wait_alu 0xfffe
	s_delay_alu instid0(SALU_CYCLE_2) | instskip(SKIP_1) | instid1(SALU_CYCLE_2)
	s_trunc_f32 s21, s21
	s_wait_alu 0xfffe
	s_fmamk_f32 s2, s21, 0xcf800000, s2
	s_cvt_u32_f32 s23, s21
	s_wait_alu 0xfffe
	s_delay_alu instid0(SALU_CYCLE_1) | instskip(SKIP_1) | instid1(SALU_CYCLE_2)
	s_cvt_u32_f32 s22, s2
	s_wait_alu 0xfffe
	s_mul_u64 s[26:27], s[24:25], s[22:23]
	s_wait_alu 0xfffe
	s_mul_hi_u32 s29, s22, s27
	s_mul_i32 s28, s22, s27
	s_mul_hi_u32 s2, s22, s26
	s_mul_i32 s30, s23, s26
	s_wait_alu 0xfffe
	s_add_nc_u64 s[28:29], s[2:3], s[28:29]
	s_mul_hi_u32 s21, s23, s26
	s_mul_hi_u32 s31, s23, s27
	s_add_co_u32 s2, s28, s30
	s_wait_alu 0xfffe
	s_add_co_ci_u32 s2, s29, s21
	s_mul_i32 s26, s23, s27
	s_add_co_ci_u32 s27, s31, 0
	s_wait_alu 0xfffe
	s_add_nc_u64 s[26:27], s[2:3], s[26:27]
	s_wait_alu 0xfffe
	v_add_co_u32 v4, s2, s22, s26
	s_delay_alu instid0(VALU_DEP_1) | instskip(SKIP_1) | instid1(VALU_DEP_1)
	s_cmp_lg_u32 s2, 0
	s_add_co_ci_u32 s23, s23, s27
	v_readfirstlane_b32 s22, v4
	s_wait_alu 0xfffe
	s_delay_alu instid0(VALU_DEP_1)
	s_mul_u64 s[24:25], s[24:25], s[22:23]
	s_wait_alu 0xfffe
	s_mul_hi_u32 s27, s22, s25
	s_mul_i32 s26, s22, s25
	s_mul_hi_u32 s2, s22, s24
	s_mul_i32 s28, s23, s24
	s_wait_alu 0xfffe
	s_add_nc_u64 s[26:27], s[2:3], s[26:27]
	s_mul_hi_u32 s21, s23, s24
	s_mul_hi_u32 s22, s23, s25
	s_wait_alu 0xfffe
	s_add_co_u32 s2, s26, s28
	s_add_co_ci_u32 s2, s27, s21
	s_mul_i32 s24, s23, s25
	s_add_co_ci_u32 s25, s22, 0
	s_wait_alu 0xfffe
	s_add_nc_u64 s[24:25], s[2:3], s[24:25]
	s_wait_alu 0xfffe
	v_add_co_u32 v4, s2, v4, s24
	s_delay_alu instid0(VALU_DEP_1) | instskip(SKIP_1) | instid1(VALU_DEP_1)
	s_cmp_lg_u32 s2, 0
	s_add_co_ci_u32 s2, s23, s25
	v_mul_hi_u32 v13, v5, v4
	s_wait_alu 0xfffe
	v_mad_co_u64_u32 v[7:8], null, v5, s2, 0
	v_mad_co_u64_u32 v[9:10], null, v6, v4, 0
	;; [unrolled: 1-line block ×3, first 2 shown]
	s_delay_alu instid0(VALU_DEP_3) | instskip(SKIP_1) | instid1(VALU_DEP_4)
	v_add_co_u32 v4, vcc_lo, v13, v7
	s_wait_alu 0xfffd
	v_add_co_ci_u32_e32 v7, vcc_lo, 0, v8, vcc_lo
	s_delay_alu instid0(VALU_DEP_2) | instskip(SKIP_1) | instid1(VALU_DEP_2)
	v_add_co_u32 v4, vcc_lo, v4, v9
	s_wait_alu 0xfffd
	v_add_co_ci_u32_e32 v4, vcc_lo, v7, v10, vcc_lo
	s_wait_alu 0xfffd
	v_add_co_ci_u32_e32 v7, vcc_lo, 0, v12, vcc_lo
	s_delay_alu instid0(VALU_DEP_2) | instskip(SKIP_1) | instid1(VALU_DEP_2)
	v_add_co_u32 v4, vcc_lo, v4, v11
	s_wait_alu 0xfffd
	v_add_co_ci_u32_e32 v9, vcc_lo, 0, v7, vcc_lo
	s_delay_alu instid0(VALU_DEP_2) | instskip(SKIP_1) | instid1(VALU_DEP_3)
	v_mul_lo_u32 v10, s19, v4
	v_mad_co_u64_u32 v[7:8], null, s18, v4, 0
	v_mul_lo_u32 v11, s18, v9
	s_delay_alu instid0(VALU_DEP_2) | instskip(NEXT) | instid1(VALU_DEP_2)
	v_sub_co_u32 v7, vcc_lo, v5, v7
	v_add3_u32 v8, v8, v11, v10
	s_delay_alu instid0(VALU_DEP_1) | instskip(SKIP_1) | instid1(VALU_DEP_1)
	v_sub_nc_u32_e32 v10, v6, v8
	s_wait_alu 0xfffd
	v_subrev_co_ci_u32_e64 v10, s2, s19, v10, vcc_lo
	v_add_co_u32 v11, s2, v4, 2
	s_wait_alu 0xf1ff
	v_add_co_ci_u32_e64 v12, s2, 0, v9, s2
	v_sub_co_u32 v13, s2, v7, s18
	v_sub_co_ci_u32_e32 v8, vcc_lo, v6, v8, vcc_lo
	s_wait_alu 0xf1ff
	v_subrev_co_ci_u32_e64 v10, s2, 0, v10, s2
	s_delay_alu instid0(VALU_DEP_3) | instskip(NEXT) | instid1(VALU_DEP_3)
	v_cmp_le_u32_e32 vcc_lo, s18, v13
	v_cmp_eq_u32_e64 s2, s19, v8
	s_wait_alu 0xfffd
	v_cndmask_b32_e64 v13, 0, -1, vcc_lo
	v_cmp_le_u32_e32 vcc_lo, s19, v10
	s_wait_alu 0xfffd
	v_cndmask_b32_e64 v14, 0, -1, vcc_lo
	v_cmp_le_u32_e32 vcc_lo, s18, v7
	;; [unrolled: 3-line block ×3, first 2 shown]
	s_wait_alu 0xfffd
	v_cndmask_b32_e64 v15, 0, -1, vcc_lo
	v_cmp_eq_u32_e32 vcc_lo, s19, v10
	s_wait_alu 0xf1ff
	s_delay_alu instid0(VALU_DEP_2)
	v_cndmask_b32_e64 v7, v15, v7, s2
	s_wait_alu 0xfffd
	v_cndmask_b32_e32 v10, v14, v13, vcc_lo
	v_add_co_u32 v13, vcc_lo, v4, 1
	s_wait_alu 0xfffd
	v_add_co_ci_u32_e32 v14, vcc_lo, 0, v9, vcc_lo
	s_delay_alu instid0(VALU_DEP_3) | instskip(SKIP_2) | instid1(VALU_DEP_3)
	v_cmp_ne_u32_e32 vcc_lo, 0, v10
	s_wait_alu 0xfffd
	v_cndmask_b32_e32 v10, v13, v11, vcc_lo
	v_cndmask_b32_e32 v8, v14, v12, vcc_lo
	v_cmp_ne_u32_e32 vcc_lo, 0, v7
	s_wait_alu 0xfffd
	s_delay_alu instid0(VALU_DEP_2)
	v_dual_cndmask_b32 v7, v4, v10 :: v_dual_cndmask_b32 v8, v9, v8
.LBB0_4:                                ;   in Loop: Header=BB0_2 Depth=1
	s_wait_alu 0xfffe
	s_and_not1_saveexec_b32 s2, s20
	s_cbranch_execz .LBB0_6
; %bb.5:                                ;   in Loop: Header=BB0_2 Depth=1
	v_cvt_f32_u32_e32 v4, s18
	s_sub_co_i32 s20, 0, s18
	s_delay_alu instid0(VALU_DEP_1) | instskip(NEXT) | instid1(TRANS32_DEP_1)
	v_rcp_iflag_f32_e32 v4, v4
	v_mul_f32_e32 v4, 0x4f7ffffe, v4
	s_delay_alu instid0(VALU_DEP_1) | instskip(SKIP_1) | instid1(VALU_DEP_1)
	v_cvt_u32_f32_e32 v4, v4
	s_wait_alu 0xfffe
	v_mul_lo_u32 v7, s20, v4
	s_delay_alu instid0(VALU_DEP_1) | instskip(NEXT) | instid1(VALU_DEP_1)
	v_mul_hi_u32 v7, v4, v7
	v_add_nc_u32_e32 v4, v4, v7
	s_delay_alu instid0(VALU_DEP_1) | instskip(NEXT) | instid1(VALU_DEP_1)
	v_mul_hi_u32 v4, v5, v4
	v_mul_lo_u32 v7, v4, s18
	v_add_nc_u32_e32 v8, 1, v4
	s_delay_alu instid0(VALU_DEP_2) | instskip(NEXT) | instid1(VALU_DEP_1)
	v_sub_nc_u32_e32 v7, v5, v7
	v_subrev_nc_u32_e32 v9, s18, v7
	v_cmp_le_u32_e32 vcc_lo, s18, v7
	s_wait_alu 0xfffd
	s_delay_alu instid0(VALU_DEP_2) | instskip(NEXT) | instid1(VALU_DEP_1)
	v_dual_cndmask_b32 v7, v7, v9 :: v_dual_cndmask_b32 v4, v4, v8
	v_cmp_le_u32_e32 vcc_lo, s18, v7
	s_delay_alu instid0(VALU_DEP_2) | instskip(SKIP_1) | instid1(VALU_DEP_1)
	v_add_nc_u32_e32 v8, 1, v4
	s_wait_alu 0xfffd
	v_dual_cndmask_b32 v7, v4, v8 :: v_dual_mov_b32 v8, v3
.LBB0_6:                                ;   in Loop: Header=BB0_2 Depth=1
	s_wait_alu 0xfffe
	s_or_b32 exec_lo, exec_lo, s2
	s_load_b64 s[20:21], s[12:13], 0x0
	s_delay_alu instid0(VALU_DEP_1)
	v_mul_lo_u32 v4, v8, s18
	v_mul_lo_u32 v11, v7, s19
	v_mad_co_u64_u32 v[9:10], null, v7, s18, 0
	s_add_nc_u64 s[14:15], s[14:15], 1
	s_add_nc_u64 s[12:13], s[12:13], 8
	s_wait_alu 0xfffe
	v_cmp_ge_u64_e64 s2, s[14:15], s[6:7]
	s_add_nc_u64 s[16:17], s[16:17], 8
	s_delay_alu instid0(VALU_DEP_2) | instskip(NEXT) | instid1(VALU_DEP_3)
	v_add3_u32 v4, v10, v11, v4
	v_sub_co_u32 v5, vcc_lo, v5, v9
	s_wait_alu 0xfffd
	s_delay_alu instid0(VALU_DEP_2) | instskip(SKIP_3) | instid1(VALU_DEP_2)
	v_sub_co_ci_u32_e32 v4, vcc_lo, v6, v4, vcc_lo
	s_and_b32 vcc_lo, exec_lo, s2
	s_wait_kmcnt 0x0
	v_mul_lo_u32 v6, s21, v5
	v_mul_lo_u32 v4, s20, v4
	v_mad_co_u64_u32 v[1:2], null, s20, v5, v[1:2]
	s_delay_alu instid0(VALU_DEP_1)
	v_add3_u32 v2, v6, v2, v4
	s_wait_alu 0xfffe
	s_cbranch_vccnz .LBB0_9
; %bb.7:                                ;   in Loop: Header=BB0_2 Depth=1
	v_dual_mov_b32 v5, v7 :: v_dual_mov_b32 v6, v8
	s_branch .LBB0_2
.LBB0_8:
	v_dual_mov_b32 v8, v6 :: v_dual_mov_b32 v7, v5
.LBB0_9:
	s_lshl_b64 s[2:3], s[6:7], 3
	v_mul_hi_u32 v5, 0x2082083, v0
	s_wait_alu 0xfffe
	s_add_nc_u64 s[2:3], s[10:11], s[2:3]
	s_load_b64 s[2:3], s[2:3], 0x0
	s_load_b64 s[0:1], s[0:1], 0x20
	s_wait_kmcnt 0x0
	v_mul_lo_u32 v3, s2, v8
	v_mul_lo_u32 v4, s3, v7
	v_mad_co_u64_u32 v[1:2], null, s2, v7, v[1:2]
	v_cmp_gt_u64_e32 vcc_lo, s[0:1], v[7:8]
	s_delay_alu instid0(VALU_DEP_2) | instskip(SKIP_1) | instid1(VALU_DEP_2)
	v_add3_u32 v2, v4, v2, v3
	v_mul_u32_u24_e32 v3, 0x7e, v5
	v_lshlrev_b64_e32 v[32:33], 3, v[1:2]
	s_delay_alu instid0(VALU_DEP_2)
	v_sub_nc_u32_e32 v30, v0, v3
	s_and_saveexec_b32 s1, vcc_lo
	s_cbranch_execz .LBB0_13
; %bb.10:
	s_delay_alu instid0(VALU_DEP_1)
	v_lshl_add_u32 v36, v30, 3, 0
	v_mov_b32_e32 v31, 0
	v_add_co_u32 v0, s0, s8, v32
	s_wait_alu 0xf1ff
	v_add_co_ci_u32_e64 v1, s0, s9, v33, s0
	v_add_nc_u32_e32 v38, 0xc00, v36
	v_lshlrev_b64_e32 v[2:3], 3, v[30:31]
	v_add_nc_u32_e32 v37, 0x400, v36
	v_add_nc_u32_e32 v39, 0x1400, v36
	s_mov_b32 s2, exec_lo
	v_add_nc_u32_e32 v40, 0x1c00, v36
	v_add_nc_u32_e32 v41, 0x2400, v36
	v_add_co_u32 v2, s0, v0, v2
	s_wait_alu 0xf1ff
	v_add_co_ci_u32_e64 v3, s0, v1, v3, s0
	v_add_nc_u32_e32 v42, 0x2c00, v36
	s_clause 0xe
	global_load_b64 v[4:5], v[2:3], off
	global_load_b64 v[6:7], v[2:3], off offset:1008
	global_load_b64 v[8:9], v[2:3], off offset:2016
	;; [unrolled: 1-line block ×14, first 2 shown]
	s_wait_loadcnt 0xd
	ds_store_2addr_b64 v36, v[4:5], v[6:7] offset1:126
	s_wait_loadcnt 0xb
	ds_store_2addr_b64 v37, v[8:9], v[10:11] offset0:124 offset1:250
	s_wait_loadcnt 0x9
	ds_store_2addr_b64 v38, v[12:13], v[14:15] offset0:120 offset1:246
	s_wait_loadcnt 0x7
	ds_store_2addr_b64 v39, v[16:17], v[18:19] offset0:116 offset1:242
	s_wait_loadcnt 0x5
	ds_store_2addr_b64 v40, v[20:21], v[22:23] offset0:112 offset1:238
	s_wait_loadcnt 0x3
	ds_store_2addr_b64 v41, v[24:25], v[26:27] offset0:108 offset1:234
	s_wait_loadcnt 0x1
	ds_store_2addr_b64 v42, v[28:29], v[34:35] offset0:104 offset1:230
	s_wait_loadcnt 0x0
	ds_store_b64 v36, v[2:3] offset:14112
	v_cmpx_eq_u32_e32 0x7d, v30
	s_cbranch_execz .LBB0_12
; %bb.11:
	global_load_b64 v[0:1], v[0:1], off offset:15120
	v_mov_b32_e32 v30, 0x7d
	s_wait_loadcnt 0x0
	ds_store_b64 v31, v[0:1] offset:15120
.LBB0_12:
	s_wait_alu 0xfffe
	s_or_b32 exec_lo, exec_lo, s2
.LBB0_13:
	s_wait_alu 0xfffe
	s_or_b32 exec_lo, exec_lo, s1
	v_lshlrev_b32_e32 v11, 3, v30
	global_wb scope:SCOPE_SE
	s_wait_dscnt 0x0
	s_barrier_signal -1
	s_barrier_wait -1
	global_inv scope:SCOPE_SE
	v_add_nc_u32_e32 v46, 0, v11
	v_sub_nc_u32_e32 v4, 0, v11
	s_mov_b32 s1, exec_lo
                                        ; implicit-def: $vgpr0_vgpr1
	ds_load_b32 v5, v46
	ds_load_b32 v6, v4 offset:15120
	s_wait_dscnt 0x0
	v_dual_sub_f32 v3, v5, v6 :: v_dual_add_f32 v2, v6, v5
	v_cmpx_ne_u32_e32 0, v30
	s_wait_alu 0xfffe
	s_xor_b32 s1, exec_lo, s1
	s_cbranch_execz .LBB0_15
; %bb.14:
	v_dual_mov_b32 v31, 0 :: v_dual_sub_f32 v8, v5, v6
	s_delay_alu instid0(VALU_DEP_1) | instskip(NEXT) | instid1(VALU_DEP_1)
	v_lshlrev_b64_e32 v[0:1], 3, v[30:31]
	v_add_co_u32 v0, s0, s4, v0
	s_wait_alu 0xf1ff
	s_delay_alu instid0(VALU_DEP_2)
	v_add_co_ci_u32_e64 v1, s0, s5, v1, s0
	global_load_b64 v[0:1], v[0:1], off offset:15104
	ds_load_b32 v2, v4 offset:15124
	ds_load_b32 v3, v46 offset:4
	v_add_f32_e32 v7, v6, v5
	s_wait_dscnt 0x0
	v_dual_add_f32 v9, v2, v3 :: v_dual_sub_f32 v2, v3, v2
	s_wait_loadcnt 0x0
	s_delay_alu instid0(VALU_DEP_1) | instskip(SKIP_2) | instid1(VALU_DEP_3)
	v_fma_f32 v6, v9, v1, -v2
	v_fma_f32 v5, -v8, v1, v7
	v_fma_f32 v10, v8, v1, v7
	v_fmac_f32_e32 v6, v8, v0
	v_fma_f32 v3, v9, v1, v2
	s_delay_alu instid0(VALU_DEP_4) | instskip(NEXT) | instid1(VALU_DEP_4)
	v_fmac_f32_e32 v5, v0, v9
	v_fma_f32 v2, -v0, v9, v10
	s_delay_alu instid0(VALU_DEP_3)
	v_dual_fmac_f32 v3, v8, v0 :: v_dual_mov_b32 v0, v30
	v_mov_b32_e32 v1, v31
	ds_store_b64 v4, v[5:6] offset:15120
.LBB0_15:
	s_wait_alu 0xfffe
	s_and_not1_saveexec_b32 s0, s1
	s_cbranch_execz .LBB0_17
; %bb.16:
	v_mov_b32_e32 v7, 0
	ds_load_b64 v[0:1], v7 offset:7560
	s_wait_dscnt 0x0
	v_dual_mul_f32 v6, -2.0, v1 :: v_dual_add_f32 v5, v0, v0
	v_mov_b32_e32 v0, 0
	v_mov_b32_e32 v1, 0
	ds_store_b64 v7, v[5:6] offset:7560
.LBB0_17:
	s_wait_alu 0xfffe
	s_or_b32 exec_lo, exec_lo, s0
	v_lshlrev_b64_e32 v[0:1], 3, v[0:1]
	s_add_nc_u64 s[0:1], s[4:5], 0x3b00
	s_wait_alu 0xfffe
	s_delay_alu instid0(VALU_DEP_1) | instskip(SKIP_1) | instid1(VALU_DEP_2)
	v_add_co_u32 v0, s0, s0, v0
	s_wait_alu 0xf1ff
	v_add_co_ci_u32_e64 v1, s0, s1, v1, s0
	v_cmp_gt_u32_e64 s0, 63, v30
	s_clause 0x5
	global_load_b64 v[5:6], v[0:1], off offset:1008
	global_load_b64 v[7:8], v[0:1], off offset:2016
	;; [unrolled: 1-line block ×6, first 2 shown]
	ds_store_b64 v46, v[2:3]
	ds_load_b64 v[2:3], v46 offset:1008
	ds_load_b64 v[18:19], v4 offset:14112
	s_wait_dscnt 0x0
	v_dual_add_f32 v20, v2, v18 :: v_dual_add_f32 v21, v19, v3
	v_sub_f32_e32 v22, v2, v18
	v_sub_f32_e32 v2, v3, v19
	s_wait_loadcnt 0x5
	s_delay_alu instid0(VALU_DEP_1) | instskip(NEXT) | instid1(VALU_DEP_3)
	v_fma_f32 v3, v21, v6, v2
	v_fma_f32 v23, v22, v6, v20
	v_fma_f32 v18, -v22, v6, v20
	s_delay_alu instid0(VALU_DEP_3) | instskip(SKIP_1) | instid1(VALU_DEP_4)
	v_fmac_f32_e32 v3, v22, v5
	v_fma_f32 v19, v21, v6, -v2
	v_fma_f32 v2, -v5, v21, v23
	s_delay_alu instid0(VALU_DEP_4) | instskip(NEXT) | instid1(VALU_DEP_3)
	v_fmac_f32_e32 v18, v5, v21
	v_fmac_f32_e32 v19, v22, v5
	ds_store_b64 v46, v[2:3] offset:1008
	ds_store_b64 v4, v[18:19] offset:14112
	ds_load_b64 v[2:3], v46 offset:2016
	ds_load_b64 v[5:6], v4 offset:13104
	s_wait_dscnt 0x0
	v_add_f32_e32 v19, v6, v3
	v_add_f32_e32 v18, v2, v5
	v_sub_f32_e32 v20, v2, v5
	v_sub_f32_e32 v2, v3, v6
	s_wait_loadcnt 0x4
	s_delay_alu instid0(VALU_DEP_2) | instskip(NEXT) | instid1(VALU_DEP_2)
	v_fma_f32 v5, -v20, v8, v18
	v_fma_f32 v3, v19, v8, v2
	v_fma_f32 v6, v19, v8, -v2
	s_delay_alu instid0(VALU_DEP_3) | instskip(SKIP_1) | instid1(VALU_DEP_4)
	v_fmac_f32_e32 v5, v7, v19
	v_fma_f32 v21, v20, v8, v18
	v_fmac_f32_e32 v3, v20, v7
	s_delay_alu instid0(VALU_DEP_4) | instskip(NEXT) | instid1(VALU_DEP_3)
	v_fmac_f32_e32 v6, v20, v7
	v_fma_f32 v2, -v7, v19, v21
	ds_store_b64 v46, v[2:3] offset:2016
	ds_store_b64 v4, v[5:6] offset:13104
	ds_load_b64 v[2:3], v46 offset:3024
	ds_load_b64 v[5:6], v4 offset:12096
	s_wait_dscnt 0x0
	v_add_f32_e32 v7, v2, v5
	v_add_f32_e32 v8, v6, v3
	v_sub_f32_e32 v18, v2, v5
	v_sub_f32_e32 v2, v3, v6
	s_wait_loadcnt 0x3
	s_delay_alu instid0(VALU_DEP_2) | instskip(NEXT) | instid1(VALU_DEP_2)
	v_fma_f32 v19, v18, v10, v7
	v_fma_f32 v3, v8, v10, v2
	v_fma_f32 v5, -v18, v10, v7
	s_delay_alu instid0(VALU_DEP_2) | instskip(SKIP_2) | instid1(VALU_DEP_2)
	v_fmac_f32_e32 v3, v18, v9
	v_fma_f32 v6, v8, v10, -v2
	v_fma_f32 v2, -v9, v8, v19
	v_dual_fmac_f32 v5, v9, v8 :: v_dual_fmac_f32 v6, v18, v9
	ds_store_b64 v46, v[2:3] offset:3024
	ds_store_b64 v4, v[5:6] offset:12096
	ds_load_b64 v[2:3], v46 offset:4032
	ds_load_b64 v[5:6], v4 offset:11088
	s_wait_dscnt 0x0
	v_add_f32_e32 v7, v2, v5
	v_add_f32_e32 v8, v6, v3
	v_dual_sub_f32 v9, v2, v5 :: v_dual_sub_f32 v2, v3, v6
	s_wait_loadcnt 0x2
	s_delay_alu instid0(VALU_DEP_1) | instskip(NEXT) | instid1(VALU_DEP_2)
	v_fma_f32 v10, v9, v13, v7
	v_fma_f32 v3, v8, v13, v2
	v_fma_f32 v5, -v9, v13, v7
	v_fma_f32 v6, v8, v13, -v2
	s_delay_alu instid0(VALU_DEP_4) | instskip(NEXT) | instid1(VALU_DEP_4)
	v_fma_f32 v2, -v12, v8, v10
	v_fmac_f32_e32 v3, v9, v12
	s_delay_alu instid0(VALU_DEP_4) | instskip(NEXT) | instid1(VALU_DEP_4)
	v_fmac_f32_e32 v5, v12, v8
	v_fmac_f32_e32 v6, v9, v12
	ds_store_b64 v46, v[2:3] offset:4032
	ds_store_b64 v4, v[5:6] offset:11088
	ds_load_b64 v[2:3], v46 offset:5040
	ds_load_b64 v[5:6], v4 offset:10080
	s_wait_dscnt 0x0
	v_add_f32_e32 v7, v2, v5
	v_add_f32_e32 v8, v6, v3
	v_dual_sub_f32 v9, v2, v5 :: v_dual_sub_f32 v2, v3, v6
	s_wait_loadcnt 0x1
	s_delay_alu instid0(VALU_DEP_1) | instskip(NEXT) | instid1(VALU_DEP_2)
	v_fma_f32 v10, v9, v15, v7
	v_fma_f32 v3, v8, v15, v2
	v_fma_f32 v5, -v9, v15, v7
	v_fma_f32 v6, v8, v15, -v2
	s_delay_alu instid0(VALU_DEP_4) | instskip(NEXT) | instid1(VALU_DEP_4)
	v_fma_f32 v2, -v14, v8, v10
	v_fmac_f32_e32 v3, v9, v14
	s_delay_alu instid0(VALU_DEP_3)
	v_dual_fmac_f32 v5, v14, v8 :: v_dual_fmac_f32 v6, v9, v14
	ds_store_b64 v46, v[2:3] offset:5040
	ds_store_b64 v4, v[5:6] offset:10080
	ds_load_b64 v[2:3], v46 offset:6048
	ds_load_b64 v[5:6], v4 offset:9072
	s_wait_dscnt 0x0
	v_add_f32_e32 v8, v6, v3
	v_sub_f32_e32 v9, v2, v5
	v_dual_add_f32 v7, v2, v5 :: v_dual_sub_f32 v2, v3, v6
	s_wait_loadcnt 0x0
	s_delay_alu instid0(VALU_DEP_1) | instskip(SKIP_1) | instid1(VALU_DEP_2)
	v_fma_f32 v6, v8, v17, -v2
	v_fma_f32 v3, v8, v17, v2
	v_fmac_f32_e32 v6, v9, v16
	v_fma_f32 v10, v9, v17, v7
	v_fma_f32 v5, -v9, v17, v7
	s_delay_alu instid0(VALU_DEP_4) | instskip(NEXT) | instid1(VALU_DEP_3)
	v_fmac_f32_e32 v3, v9, v16
	v_fma_f32 v2, -v16, v8, v10
	s_delay_alu instid0(VALU_DEP_3)
	v_fmac_f32_e32 v5, v16, v8
	ds_store_b64 v46, v[2:3] offset:6048
	ds_store_b64 v4, v[5:6] offset:9072
	s_and_saveexec_b32 s1, s0
	s_cbranch_execz .LBB0_19
; %bb.18:
	global_load_b64 v[0:1], v[0:1], off offset:7056
	ds_load_b64 v[2:3], v46 offset:7056
	ds_load_b64 v[5:6], v4 offset:8064
	s_wait_dscnt 0x0
	v_dual_add_f32 v8, v6, v3 :: v_dual_sub_f32 v3, v3, v6
	v_sub_f32_e32 v9, v2, v5
	v_add_f32_e32 v7, v2, v5
	s_wait_loadcnt 0x0
	s_delay_alu instid0(VALU_DEP_3) | instskip(SKIP_1) | instid1(VALU_DEP_2)
	v_fma_f32 v2, v8, v1, v3
	v_fma_f32 v6, v8, v1, -v3
	v_fmac_f32_e32 v2, v9, v0
	v_fma_f32 v10, v9, v1, v7
	v_fma_f32 v5, -v9, v1, v7
	s_delay_alu instid0(VALU_DEP_4) | instskip(NEXT) | instid1(VALU_DEP_3)
	v_fmac_f32_e32 v6, v9, v0
	v_fma_f32 v1, -v0, v8, v10
	s_delay_alu instid0(VALU_DEP_3)
	v_fmac_f32_e32 v5, v0, v8
	ds_store_b64 v46, v[1:2] offset:7056
	ds_store_b64 v4, v[5:6] offset:8064
.LBB0_19:
	s_wait_alu 0xfffe
	s_or_b32 exec_lo, exec_lo, s1
	v_add_nc_u32_e32 v4, 0x1c00, v46
	global_wb scope:SCOPE_SE
	s_wait_dscnt 0x0
	s_barrier_signal -1
	s_barrier_wait -1
	global_inv scope:SCOPE_SE
	global_wb scope:SCOPE_SE
	s_barrier_signal -1
	s_barrier_wait -1
	global_inv scope:SCOPE_SE
	ds_load_2addr_b64 v[13:16], v46 offset1:126
	ds_load_2addr_b64 v[17:20], v4 offset0:49 offset1:175
	v_add_nc_u32_e32 v5, 0x400, v46
	v_add_nc_u32_e32 v6, 0x2400, v46
	;; [unrolled: 1-line block ×4, first 2 shown]
	s_wait_dscnt 0x0
	v_dual_sub_f32 v19, v15, v19 :: v_dual_sub_f32 v20, v16, v20
	ds_load_2addr_b64 v[21:24], v5 offset0:124 offset1:250
	v_add_nc_u32_e32 v8, 0xc00, v46
	v_add_nc_u32_e32 v7, 0x2c00, v46
	ds_load_2addr_b64 v[25:28], v6 offset0:45 offset1:171
	ds_load_2addr_b64 v[34:37], v8 offset0:120 offset1:246
	;; [unrolled: 1-line block ×3, first 2 shown]
	v_add_nc_u32_e32 v12, 0x1400, v46
	v_add_nc_u32_e32 v9, 0x3400, v46
	v_dual_sub_f32 v17, v13, v17 :: v_dual_sub_f32 v18, v14, v18
	v_add_nc_u32_e32 v10, 0x17a, v30
	v_fma_f32 v15, v15, 2.0, -v19
	v_fma_f32 v16, v16, 2.0, -v20
	s_delay_alu instid0(VALU_DEP_4)
	v_fma_f32 v13, v13, 2.0, -v17
	s_wait_dscnt 0x2
	v_sub_f32_e32 v27, v23, v27
	v_sub_f32_e32 v25, v21, v25
	s_wait_dscnt 0x0
	v_dual_sub_f32 v39, v35, v39 :: v_dual_sub_f32 v40, v36, v40
	ds_load_2addr_b64 v[0:3], v12 offset0:116 offset1:242
	ds_load_2addr_b64 v[42:45], v9 offset0:37 offset1:163
	v_add_nc_u32_e32 v47, 0x7e, v30
	v_sub_f32_e32 v38, v34, v38
	v_dual_sub_f32 v26, v22, v26 :: v_dual_sub_f32 v41, v37, v41
	v_fma_f32 v14, v14, 2.0, -v18
	v_sub_f32_e32 v28, v24, v28
	v_fma_f32 v49, v35, 2.0, -v39
	v_add_nc_u32_e32 v9, 0x1f8, v30
	v_fma_f32 v21, v21, 2.0, -v25
	global_wb scope:SCOPE_SE
	s_wait_dscnt 0x0
	s_barrier_signal -1
	s_barrier_wait -1
	global_inv scope:SCOPE_SE
	v_fma_f32 v23, v23, 2.0, -v27
	v_fma_f32 v24, v24, 2.0, -v28
	;; [unrolled: 1-line block ×4, first 2 shown]
	v_dual_sub_f32 v43, v1, v43 :: v_dual_sub_f32 v42, v0, v42
	v_sub_f32_e32 v35, v3, v45
	v_fma_f32 v48, v34, 2.0, -v38
	v_sub_f32_e32 v34, v2, v44
	v_lshl_add_u32 v44, v47, 4, 0
	v_lshl_add_u32 v45, v30, 4, 0
	v_fma_f32 v22, v22, 2.0, -v26
	ds_store_2addr_b64 v29, v[13:14], v[17:18] offset1:1
	ds_store_2addr_b64 v44, v[15:16], v[19:20] offset1:1
	v_lshl_add_u32 v13, v31, 4, 0
	v_lshl_add_u32 v14, v10, 4, 0
	;; [unrolled: 1-line block ×3, first 2 shown]
	v_add_nc_u32_e32 v16, 0x2760, v45
	v_fma_f32 v0, v0, 2.0, -v42
	v_fma_f32 v1, v1, 2.0, -v43
	v_add_nc_u32_e32 v17, 0x2f40, v45
	ds_store_2addr_b64 v13, v[21:22], v[25:26] offset1:1
	ds_store_2addr_b64 v14, v[23:24], v[27:28] offset1:1
	;; [unrolled: 1-line block ×5, first 2 shown]
	s_and_saveexec_b32 s1, s0
	s_cbranch_execz .LBB0_21
; %bb.20:
	v_fma_f32 v1, v3, 2.0, -v35
	v_fma_f32 v0, v2, 2.0, -v34
	v_add3_u32 v2, v46, v11, 0x3720
	ds_store_2addr_b64 v2, v[0:1], v[34:35] offset1:1
.LBB0_21:
	s_wait_alu 0xfffe
	s_or_b32 exec_lo, exec_lo, s1
	v_and_b32_e32 v13, 1, v30
	global_wb scope:SCOPE_SE
	s_wait_dscnt 0x0
	s_barrier_signal -1
	s_barrier_wait -1
	global_inv scope:SCOPE_SE
	v_lshlrev_b32_e32 v0, 4, v13
	v_lshrrev_b32_e32 v27, 1, v30
	v_lshrrev_b32_e32 v28, 1, v47
	;; [unrolled: 1-line block ×4, first 2 shown]
	global_load_b128 v[0:3], v0, s[4:5]
	ds_load_2addr_b64 v[15:18], v46 offset1:126
	ds_load_2addr_b64 v[19:22], v8 offset0:120 offset1:246
	ds_load_2addr_b64 v[23:26], v6 offset0:108 offset1:234
	;; [unrolled: 1-line block ×4, first 2 shown]
	ds_load_2addr_b32 v[11:12], v7 offset0:208 offset1:209
	ds_load_2addr_b64 v[50:53], v4 offset0:112 offset1:238
	v_and_b32_e32 v49, 0xff, v30
	v_and_b32_e32 v48, 0xff, v47
	v_lshrrev_b32_e32 v45, 1, v9
	v_mul_u32_u24_e32 v27, 6, v27
	v_mul_u32_u24_e32 v28, 6, v28
	v_mul_lo_u16 v61, 0xab, v49
	v_mul_u32_u24_e32 v29, 6, v29
	v_mul_u32_u24_e32 v44, 6, v44
	;; [unrolled: 1-line block ×3, first 2 shown]
	v_or_b32_e32 v27, v27, v13
	v_lshrrev_b16 v61, 10, v61
	v_or_b32_e32 v28, v28, v13
	v_or_b32_e32 v29, v29, v13
	;; [unrolled: 1-line block ×4, first 2 shown]
	v_mul_lo_u16 v45, v61, 6
	v_and_b32_e32 v58, 0xffff, v31
	v_add_nc_u32_e32 v14, 0x3000, v46
	v_lshl_add_u32 v68, v28, 3, 0
	v_lshl_add_u32 v67, v27, 3, 0
	v_sub_nc_u16 v28, v30, v45
	v_and_b32_e32 v59, 0xffff, v10
	v_and_b32_e32 v60, 0xffff, v9
	v_lshl_add_u32 v29, v29, 3, 0
	v_lshl_add_u32 v13, v13, 3, 0
	v_and_b32_e32 v69, 0xff, v28
	v_cmp_gt_u32_e64 s0, 18, v30
	s_wait_loadcnt_dscnt 0x4
	v_mul_f32_e32 v78, v3, v25
	s_wait_dscnt 0x3
	v_mul_f32_e32 v75, v1, v37
	v_mul_lo_u16 v62, 0xab, v48
	v_mul_f32_e32 v77, v3, v26
	v_mul_u32_u24_e32 v63, 0xaaab, v58
	v_mul_f32_e32 v28, v1, v21
	v_mul_f32_e32 v76, v1, v36
	v_lshrrev_b16 v62, 10, v62
	v_dual_mul_f32 v80, v1, v38 :: v_dual_lshlrev_b32 v73, 4, v69
	v_lshrrev_b32_e32 v63, 18, v63
	v_mul_f32_e32 v79, v1, v39
	s_delay_alu instid0(VALU_DEP_4)
	v_mul_lo_u16 v66, v62, 6
	s_wait_dscnt 0x0
	v_dual_mul_f32 v82, v3, v11 :: v_dual_mul_f32 v87, v53, v1
	v_mul_lo_u16 v27, v63, 6
	v_mul_u32_u24_e32 v64, 0xaaab, v59
	v_sub_nc_u16 v45, v47, v66
	v_lshl_add_u32 v66, v44, 3, 0
	v_mul_f32_e32 v44, v3, v24
	v_sub_nc_u16 v27, v31, v27
	s_delay_alu instid0(VALU_DEP_4)
	v_dual_mul_f32 v81, v12, v3 :: v_dual_and_b32 v70, 0xff, v45
	v_mul_f32_e32 v45, v3, v23
	ds_load_2addr_b64 v[54:57], v14 offset0:102 offset1:228
	v_dual_mul_f32 v83, v51, v1 :: v_dual_and_b32 v72, 0xffff, v27
	v_dual_mul_f32 v27, v1, v22 :: v_dual_mul_f32 v84, v50, v1
	v_lshlrev_b32_e32 v74, 4, v70
	global_wb scope:SCOPE_SE
	s_wait_dscnt 0x0
	s_barrier_signal -1
	s_barrier_wait -1
	global_inv scope:SCOPE_SE
	v_mul_u32_u24_e32 v65, 0xaaab, v60
	v_lshrrev_b32_e32 v64, 18, v64
	v_mul_f32_e32 v1, v52, v1
	v_fmac_f32_e32 v28, v0, v22
	v_fma_f32 v22, v0, v36, -v75
	v_fmac_f32_e32 v45, v2, v24
	v_fma_f32 v24, v0, v38, -v79
	v_dual_fmac_f32 v1, v53, v0 :: v_dual_fmac_f32 v80, v0, v39
	s_delay_alu instid0(VALU_DEP_4)
	v_dual_add_f32 v39, v17, v22 :: v_dual_mul_f32 v86, v54, v3
	v_mul_f32_e32 v89, v56, v3
	v_mul_f32_e32 v85, v55, v3
	;; [unrolled: 1-line block ×3, first 2 shown]
	v_fma_f32 v3, v0, v21, -v27
	v_fma_f32 v21, v2, v23, -v44
	v_dual_fmac_f32 v76, v0, v37 :: v_dual_fmac_f32 v89, v57, v2
	v_fma_f32 v23, v2, v25, -v77
	v_fma_f32 v25, v2, v11, -v81
	v_fmac_f32_e32 v82, v12, v2
	v_fmac_f32_e32 v84, v51, v0
	;; [unrolled: 1-line block ×3, first 2 shown]
	v_fma_f32 v12, v52, v0, -v87
	v_dual_sub_f32 v75, v24, v25 :: v_dual_fmac_f32 v78, v2, v26
	v_add_f32_e32 v37, v16, v28
	v_fma_f32 v26, v54, v2, -v85
	v_fma_f32 v27, v56, v2, -v88
	v_dual_add_f32 v51, v18, v76 :: v_dual_add_f32 v2, v3, v21
	v_add_f32_e32 v57, v80, v82
	v_fma_f32 v11, v50, v0, -v83
	v_dual_add_f32 v0, v15, v3 :: v_dual_sub_f32 v55, v80, v82
	v_dual_add_f32 v44, v22, v23 :: v_dual_add_f32 v83, v19, v12
	v_dual_sub_f32 v53, v22, v23 :: v_dual_add_f32 v22, v40, v24
	v_dual_add_f32 v56, v41, v80 :: v_dual_add_f32 v87, v20, v1
	v_add_f32_e32 v80, v84, v86
	v_dual_sub_f32 v36, v28, v45 :: v_dual_add_f32 v79, v43, v84
	v_dual_add_f32 v28, v28, v45 :: v_dual_sub_f32 v81, v11, v26
	v_fma_f32 v2, -0.5, v2, v15
	v_add_f32_e32 v52, v76, v78
	v_dual_sub_f32 v50, v76, v78 :: v_dual_sub_f32 v85, v1, v89
	v_add_f32_e32 v54, v24, v25
	v_add_f32_e32 v24, v42, v11
	;; [unrolled: 1-line block ×6, first 2 shown]
	v_dual_fmac_f32 v43, -0.5, v80 :: v_dual_sub_f32 v38, v3, v21
	v_sub_f32_e32 v77, v84, v86
	v_fma_f32 v3, -0.5, v28, v16
	v_add_f32_e32 v84, v12, v27
	v_fma_f32 v17, -0.5, v44, v17
	v_sub_f32_e32 v90, v12, v27
	v_dual_fmamk_f32 v27, v36, 0x3f5db3d7, v2 :: v_dual_add_f32 v88, v1, v89
	v_add_f32_e32 v23, v24, v26
	v_dual_add_f32 v1, v37, v45 :: v_dual_fmac_f32 v18, -0.5, v52
	v_fma_f32 v22, -0.5, v57, v41
	v_dual_fmamk_f32 v41, v81, 0xbf5db3d7, v43 :: v_dual_add_f32 v0, v0, v21
	v_fma_f32 v21, -0.5, v54, v40
	s_delay_alu instid0(VALU_DEP_4)
	v_fmamk_f32 v37, v53, 0xbf5db3d7, v18
	v_fma_f32 v42, -0.5, v76, v42
	v_fmamk_f32 v28, v38, 0xbf5db3d7, v3
	v_fmac_f32_e32 v3, 0x3f5db3d7, v38
	v_fma_f32 v19, -0.5, v84, v19
	v_fmac_f32_e32 v20, -0.5, v88
	v_fmac_f32_e32 v2, 0xbf5db3d7, v36
	v_add_f32_e32 v12, v51, v78
	v_dual_fmamk_f32 v36, v50, 0x3f5db3d7, v17 :: v_dual_lshlrev_b32 v57, 3, v70
	v_fmac_f32_e32 v17, 0xbf5db3d7, v50
	v_fmac_f32_e32 v18, 0x3f5db3d7, v53
	v_dual_add_f32 v16, v56, v82 :: v_dual_fmamk_f32 v39, v75, 0xbf5db3d7, v22
	v_fmamk_f32 v38, v55, 0x3f5db3d7, v21
	v_dual_add_f32 v24, v79, v86 :: v_dual_fmac_f32 v43, 0x3f5db3d7, v81
	v_fmac_f32_e32 v21, 0xbf5db3d7, v55
	v_fmac_f32_e32 v22, 0x3f5db3d7, v75
	v_fmamk_f32 v40, v77, 0x3f5db3d7, v42
	v_fmac_f32_e32 v42, 0xbf5db3d7, v77
	v_fmamk_f32 v44, v85, 0x3f5db3d7, v19
	v_fmac_f32_e32 v19, 0xbf5db3d7, v85
	v_dual_add_f32 v26, v87, v89 :: v_dual_fmamk_f32 v45, v90, 0xbf5db3d7, v20
	v_fmac_f32_e32 v20, 0x3f5db3d7, v90
	ds_store_2addr_b64 v67, v[0:1], v[27:28] offset1:2
	ds_store_b64 v67, v[2:3] offset:32
	ds_store_2addr_b64 v68, v[11:12], v[36:37] offset1:2
	ds_store_b64 v68, v[17:18] offset:32
	;; [unrolled: 2-line block ×5, first 2 shown]
	global_wb scope:SCOPE_SE
	s_wait_dscnt 0x0
	s_barrier_signal -1
	s_barrier_wait -1
	global_inv scope:SCOPE_SE
	s_clause 0x1
	global_load_b128 v[15:18], v74, s[4:5] offset:32
	global_load_b128 v[0:3], v73, s[4:5] offset:32
	v_lshrrev_b32_e32 v65, 18, v65
	v_mul_lo_u16 v71, v64, 6
	ds_load_2addr_b64 v[50:53], v6 offset0:108 offset1:234
	v_lshlrev_b32_e32 v13, 4, v72
	v_mul_lo_u16 v28, v48, 57
	v_mul_lo_u16 v12, v65, 6
	v_sub_nc_u16 v11, v10, v71
	v_mul_u32_u24_e32 v29, 0xe38f, v58
	global_load_b128 v[19:22], v13, s[4:5] offset:32
	v_mul_u32_u24_e32 v40, 0xe38f, v59
	v_mul_u32_u24_e32 v41, 0xe38f, v60
	v_and_b32_e32 v27, 0xffff, v11
	v_sub_nc_u16 v11, v9, v12
	v_lshrrev_b16 v73, 10, v28
	v_lshrrev_b32_e32 v29, 20, v29
	v_lshrrev_b32_e32 v74, 20, v40
	v_lshlrev_b32_e32 v12, 4, v27
	v_and_b32_e32 v13, 0xffff, v11
	v_lshrrev_b32_e32 v75, 20, v41
	v_mul_lo_u16 v41, v73, 18
	v_mul_lo_u16 v42, v29, 18
	global_load_b128 v[23:26], v12, s[4:5] offset:32
	v_mul_lo_u16 v43, v74, 18
	v_mul_u32_u24_e32 v44, 0x90, v63
	v_mul_u32_u24_e32 v45, 0x90, v64
	;; [unrolled: 1-line block ×3, first 2 shown]
	v_mul_lo_u16 v76, v75, 18
	v_sub_nc_u16 v10, v10, v43
	s_wait_loadcnt_dscnt 0x300
	v_mul_f32_e32 v88, v18, v53
	s_wait_loadcnt 0x2
	v_dual_mul_f32 v86, v3, v51 :: v_dual_lshlrev_b32 v11, 4, v13
	v_dual_mul_f32 v3, v3, v50 :: v_dual_mul_f32 v18, v18, v52
	global_load_b128 v[36:39], v11, s[4:5] offset:32
	v_mul_lo_u16 v12, v49, 57
	v_add_nc_u32_e32 v11, 0x1800, v46
	v_dual_fmac_f32 v3, v2, v51 :: v_dual_lshlrev_b32 v60, 3, v13
	v_and_b32_e32 v28, 0xffff, v62
	s_delay_alu instid0(VALU_DEP_4)
	v_lshrrev_b16 v71, 10, v12
	v_and_b32_e32 v12, 0xffff, v61
	v_lshlrev_b32_e32 v56, 3, v69
	v_add3_u32 v84, 0, v54, v60
	v_mul_u32_u24_e32 v28, 0x90, v28
	v_mul_lo_u16 v40, v71, 18
	v_mul_u32_u24_e32 v55, 0x90, v12
	v_fma_f32 v50, v2, v50, -v86
	s_delay_alu instid0(VALU_DEP_4) | instskip(NEXT) | instid1(VALU_DEP_4)
	v_add3_u32 v81, 0, v28, v57
	v_sub_nc_u16 v12, v30, v40
	v_sub_nc_u16 v40, v47, v41
	;; [unrolled: 1-line block ×3, first 2 shown]
	v_add3_u32 v80, 0, v55, v56
	s_delay_alu instid0(VALU_DEP_4) | instskip(NEXT) | instid1(VALU_DEP_4)
	v_and_b32_e32 v77, 0xff, v12
	v_and_b32_e32 v78, 0xff, v40
	s_delay_alu instid0(VALU_DEP_4)
	v_and_b32_e32 v79, 0xffff, v41
	ds_load_2addr_b64 v[40:43], v8 offset0:120 offset1:246
	ds_load_b64 v[12:13], v46 offset:6048
	s_wait_dscnt 0x1
	v_mul_f32_e32 v85, v1, v43
	v_dual_mul_f32 v1, v1, v42 :: v_dual_lshlrev_b32 v58, 3, v72
	s_wait_dscnt 0x0
	v_mul_f32_e32 v87, v16, v13
	v_dual_mul_f32 v16, v16, v12 :: v_dual_lshlrev_b32 v59, 3, v27
	s_delay_alu instid0(VALU_DEP_3)
	v_fmac_f32_e32 v1, v0, v43
	ds_load_2addr_b32 v[27:28], v11 offset0:228 offset1:229
	v_add3_u32 v82, 0, v44, v58
	v_fma_f32 v12, v15, v12, -v87
	v_add3_u32 v83, 0, v45, v59
	ds_load_2addr_b64 v[54:57], v46 offset1:126
	ds_load_2addr_b64 v[58:61], v7 offset0:104 offset1:230
	ds_load_2addr_b64 v[62:65], v5 offset0:124 offset1:250
	;; [unrolled: 1-line block ×3, first 2 shown]
	ds_load_b64 v[44:45], v46 offset:14112
	v_fma_f32 v42, v0, v42, -v85
	v_fmac_f32_e32 v16, v15, v13
	v_fma_f32 v15, v17, v52, -v88
	v_fmac_f32_e32 v18, v17, v53
	global_wb scope:SCOPE_SE
	s_wait_loadcnt_dscnt 0x0
	s_barrier_signal -1
	s_barrier_wait -1
	v_add_f32_e32 v43, v12, v15
	global_inv scope:SCOPE_SE
	v_mul_f32_e32 v89, v28, v20
	v_dual_mul_f32 v20, v20, v27 :: v_dual_mul_f32 v13, v59, v22
	v_dual_mul_f32 v17, v67, v24 :: v_dual_mul_f32 v22, v58, v22
	v_mul_f32_e32 v24, v66, v24
	s_delay_alu instid0(VALU_DEP_4) | instskip(NEXT) | instid1(VALU_DEP_4)
	v_fma_f32 v0, v19, v27, -v89
	v_fmac_f32_e32 v20, v28, v19
	v_fma_f32 v19, v58, v21, -v13
	v_mul_f32_e32 v52, v61, v26
	v_fma_f32 v13, v66, v23, -v17
	v_add_f32_e32 v17, v54, v42
	v_mul_f32_e32 v26, v60, v26
	v_fmac_f32_e32 v24, v67, v23
	v_add_f32_e32 v53, v0, v19
	v_sub_f32_e32 v27, v1, v3
	v_mul_f32_e32 v51, v45, v39
	v_dual_mul_f32 v39, v44, v39 :: v_dual_lshlrev_b32 v70, 4, v77
	v_mul_f32_e32 v2, v69, v37
	v_mul_f32_e32 v37, v68, v37
	s_delay_alu instid0(VALU_DEP_4) | instskip(NEXT) | instid1(VALU_DEP_4)
	v_fma_f32 v23, v44, v38, -v51
	v_fmac_f32_e32 v39, v45, v38
	v_add_f32_e32 v45, v57, v16
	v_fmac_f32_e32 v26, v61, v25
	v_add_f32_e32 v61, v64, v13
	v_fmac_f32_e32 v22, v59, v21
	v_fma_f32 v21, v60, v25, -v52
	v_fmac_f32_e32 v37, v69, v36
	v_add_f32_e32 v25, v42, v50
	v_lshlrev_b32_e32 v72, 4, v78
	v_add_f32_e32 v28, v55, v1
	v_sub_f32_e32 v69, v13, v21
	v_sub_f32_e32 v87, v37, v39
	v_add_f32_e32 v59, v63, v20
	v_fma_f32 v2, v68, v36, -v2
	v_sub_f32_e32 v38, v42, v50
	v_add_f32_e32 v42, v56, v12
	v_sub_f32_e32 v44, v16, v18
	v_sub_f32_e32 v51, v12, v15
	v_add_f32_e32 v85, v40, v2
	v_sub_f32_e32 v67, v24, v26
	v_sub_f32_e32 v89, v2, v23
	v_fma_f32 v56, -0.5, v43, v56
	v_add_f32_e32 v88, v41, v37
	v_add_f32_e32 v37, v37, v39
	v_add_f32_e32 v86, v2, v23
	v_fma_f32 v2, -0.5, v25, v54
	v_add_f32_e32 v68, v65, v24
	v_add_f32_e32 v24, v24, v26
	;; [unrolled: 1-line block ×4, first 2 shown]
	v_sub_f32_e32 v58, v20, v22
	v_dual_add_f32 v20, v20, v22 :: v_dual_fmac_f32 v41, -0.5, v37
	v_dual_fmac_f32 v65, -0.5, v24 :: v_dual_add_f32 v36, v1, v3
	v_fmac_f32_e32 v57, -0.5, v16
	v_dual_add_f32 v1, v28, v3 :: v_dual_add_f32 v66, v13, v21
	v_dual_sub_f32 v60, v0, v19 :: v_dual_add_f32 v13, v45, v18
	s_delay_alu instid0(VALU_DEP_4)
	v_fma_f32 v3, -0.5, v36, v55
	v_add_f32_e32 v12, v42, v15
	v_add_f32_e32 v15, v52, v19
	v_fma_f32 v18, -0.5, v20, v63
	v_add_f32_e32 v19, v61, v21
	v_add_f32_e32 v21, v85, v23
	;; [unrolled: 1-line block ×3, first 2 shown]
	v_fma_f32 v17, -0.5, v53, v62
	v_fma_f32 v64, -0.5, v66, v64
	v_fmamk_f32 v23, v27, 0x3f5db3d7, v2
	v_fmamk_f32 v24, v38, 0xbf5db3d7, v3
	v_fmac_f32_e32 v3, 0x3f5db3d7, v38
	v_fma_f32 v40, -0.5, v86, v40
	v_fmac_f32_e32 v2, 0xbf5db3d7, v27
	v_add_f32_e32 v20, v68, v26
	v_fmamk_f32 v25, v44, 0x3f5db3d7, v56
	v_fmamk_f32 v26, v51, 0xbf5db3d7, v57
	v_fmac_f32_e32 v56, 0xbf5db3d7, v44
	v_dual_fmac_f32 v57, 0x3f5db3d7, v51 :: v_dual_add_f32 v16, v59, v22
	v_fmamk_f32 v37, v69, 0xbf5db3d7, v65
	v_fmamk_f32 v27, v58, 0x3f5db3d7, v17
	v_dual_fmac_f32 v17, 0xbf5db3d7, v58 :: v_dual_fmamk_f32 v28, v60, 0xbf5db3d7, v18
	v_fmac_f32_e32 v18, 0x3f5db3d7, v60
	v_dual_add_f32 v22, v88, v39 :: v_dual_fmamk_f32 v39, v89, 0xbf5db3d7, v41
	v_fmamk_f32 v36, v67, 0x3f5db3d7, v64
	v_fmac_f32_e32 v64, 0xbf5db3d7, v67
	v_dual_fmac_f32 v65, 0x3f5db3d7, v69 :: v_dual_fmamk_f32 v38, v87, 0x3f5db3d7, v40
	v_fmac_f32_e32 v40, 0xbf5db3d7, v87
	v_fmac_f32_e32 v41, 0x3f5db3d7, v89
	ds_store_2addr_b64 v80, v[0:1], v[23:24] offset1:6
	ds_store_b64 v80, v[2:3] offset:96
	ds_store_2addr_b64 v81, v[12:13], v[25:26] offset1:6
	ds_store_b64 v81, v[56:57] offset:96
	;; [unrolled: 2-line block ×5, first 2 shown]
	global_wb scope:SCOPE_SE
	s_wait_dscnt 0x0
	s_barrier_signal -1
	s_barrier_wait -1
	global_inv scope:SCOPE_SE
	global_load_b128 v[15:18], v70, s[4:5] offset:128
	v_lshlrev_b32_e32 v1, 4, v79
	v_sub_nc_u16 v0, v9, v76
	global_load_b128 v[19:22], v72, s[4:5] offset:128
	v_mul_u32_u24_e32 v27, 0x1b0, v29
	v_mul_u32_u24_e32 v29, 0x1b0, v74
	global_load_b128 v[23:26], v1, s[4:5] offset:128
	v_and_b32_e32 v9, 0xffff, v10
	v_and_b32_e32 v10, 0xffff, v0
	v_mul_u32_u24_e32 v54, 0x1b0, v75
	v_lshlrev_b32_e32 v57, 3, v78
	s_delay_alu instid0(VALU_DEP_4) | instskip(NEXT) | instid1(VALU_DEP_4)
	v_lshlrev_b32_e32 v0, 4, v9
	v_lshlrev_b32_e32 v1, 4, v10
	s_clause 0x1
	global_load_b128 v[36:39], v0, s[4:5] offset:128
	global_load_b128 v[40:43], v1, s[4:5] offset:128
	v_and_b32_e32 v0, 0xffff, v71
	v_and_b32_e32 v1, 0xffff, v73
	ds_load_2addr_b64 v[50:53], v6 offset0:108 offset1:234
	v_lshlrev_b32_e32 v56, 3, v77
	v_lshlrev_b32_e32 v58, 3, v79
	v_mul_u32_u24_e32 v28, 0x1b0, v0
	v_mul_u32_u24_e32 v55, 0x1b0, v1
	ds_load_2addr_b64 v[0:3], v8 offset0:120 offset1:246
	ds_load_b64 v[12:13], v46 offset:6048
	v_add3_u32 v70, 0, v27, v58
	v_add3_u32 v68, 0, v28, v56
	ds_load_2addr_b32 v[27:28], v11 offset0:228 offset1:229
	v_add_nc_u32_e32 v45, 0x1000, v46
	v_add_nc_u32_e32 v67, 0x2800, v46
	v_add3_u32 v69, 0, v55, v57
	s_wait_loadcnt_dscnt 0x402
	v_mul_f32_e32 v71, v16, v3
	v_mul_f32_e32 v16, v16, v2
	;; [unrolled: 1-line block ×3, first 2 shown]
	s_wait_loadcnt 0x3
	v_mul_f32_e32 v74, v22, v53
	s_wait_dscnt 0x1
	v_mul_f32_e32 v73, v20, v13
	v_fma_f32 v2, v15, v2, -v71
	v_fmac_f32_e32 v16, v15, v3
	v_fma_f32 v3, v17, v50, -v72
	v_lshlrev_b32_e32 v8, 3, v9
	v_mul_f32_e32 v20, v20, v12
	s_wait_loadcnt_dscnt 0x200
	v_mul_f32_e32 v75, v28, v24
	v_fma_f32 v12, v19, v12, -v73
	v_add3_u32 v29, 0, v29, v8
	ds_load_2addr_b64 v[6:9], v7 offset0:104 offset1:230
	v_fmac_f32_e32 v20, v19, v13
	v_fma_f32 v13, v21, v52, -v74
	v_mul_f32_e32 v18, v18, v50
	v_fma_f32 v15, v23, v27, -v75
	v_mul_f32_e32 v24, v24, v27
	s_delay_alu instid0(VALU_DEP_3) | instskip(SKIP_4) | instid1(VALU_DEP_1)
	v_dual_add_f32 v27, v12, v13 :: v_dual_fmac_f32 v18, v17, v51
	v_mul_f32_e32 v22, v22, v52
	s_wait_loadcnt_dscnt 0x100
	v_mul_f32_e32 v78, v9, v39
	v_dual_mul_f32 v39, v8, v39 :: v_dual_lshlrev_b32 v10, 3, v10
	v_fmac_f32_e32 v39, v9, v38
	v_mul_f32_e32 v76, v7, v26
	v_mul_f32_e32 v26, v6, v26
	v_add_f32_e32 v9, v16, v18
	v_fma_f32 v19, v8, v38, -v78
	s_delay_alu instid0(VALU_DEP_4) | instskip(NEXT) | instid1(VALU_DEP_4)
	v_fma_f32 v17, v6, v25, -v76
	v_dual_fmac_f32 v26, v7, v25 :: v_dual_sub_f32 v25, v2, v3
	v_add3_u32 v10, 0, v54, v10
	ds_load_2addr_b64 v[54:57], v4 offset0:112 offset1:238
	ds_load_2addr_b64 v[58:61], v46 offset1:126
	ds_load_2addr_b64 v[62:65], v5 offset0:124 offset1:250
	ds_load_b64 v[4:5], v46 offset:14112
	v_dual_sub_f32 v51, v15, v17 :: v_dual_add_nc_u32 v44, 0x800, v46
	global_wb scope:SCOPE_SE
	s_wait_loadcnt_dscnt 0x0
	s_barrier_signal -1
	s_barrier_wait -1
	global_inv scope:SCOPE_SE
	v_mul_f32_e32 v77, v55, v37
	v_mul_f32_e32 v37, v54, v37
	;; [unrolled: 1-line block ×3, first 2 shown]
	v_dual_mul_f32 v41, v56, v41 :: v_dual_add_nc_u32 v66, 0x2000, v46
	s_delay_alu instid0(VALU_DEP_4) | instskip(NEXT) | instid1(VALU_DEP_4)
	v_fma_f32 v6, v54, v36, -v77
	v_dual_fmac_f32 v37, v55, v36 :: v_dual_mul_f32 v80, v5, v43
	v_mul_f32_e32 v43, v4, v43
	v_fma_f32 v7, v56, v40, -v79
	v_fmac_f32_e32 v24, v28, v23
	v_dual_sub_f32 v23, v16, v18 :: v_dual_fmac_f32 v22, v21, v53
	v_fmac_f32_e32 v41, v57, v40
	v_fmac_f32_e32 v43, v5, v42
	v_sub_f32_e32 v53, v37, v39
	v_add_f32_e32 v54, v65, v37
	v_add_f32_e32 v37, v37, v39
	v_dual_sub_f32 v55, v6, v19 :: v_dual_sub_f32 v28, v20, v22
	v_add_f32_e32 v36, v61, v20
	v_add_f32_e32 v20, v20, v22
	v_dual_sub_f32 v38, v12, v13 :: v_dual_sub_f32 v71, v41, v43
	v_dual_add_f32 v56, v0, v7 :: v_dual_fmac_f32 v65, -0.5, v37
	s_delay_alu instid0(VALU_DEP_3)
	v_fmac_f32_e32 v61, -0.5, v20
	v_add_f32_e32 v8, v59, v16
	v_add_f32_e32 v16, v60, v12
	;; [unrolled: 1-line block ×3, first 2 shown]
	v_fma_f32 v60, -0.5, v27, v60
	v_dual_add_f32 v40, v15, v17 :: v_dual_add_f32 v15, v64, v6
	v_fma_f32 v21, v4, v42, -v80
	v_add_f32_e32 v4, v58, v2
	v_dual_add_f32 v5, v2, v3 :: v_dual_add_f32 v72, v1, v41
	v_add_f32_e32 v41, v41, v43
	s_delay_alu instid0(VALU_DEP_4) | instskip(SKIP_2) | instid1(VALU_DEP_4)
	v_add_f32_e32 v57, v7, v21
	v_dual_sub_f32 v73, v7, v21 :: v_dual_add_f32 v52, v6, v19
	v_add_f32_e32 v7, v36, v22
	v_dual_fmac_f32 v1, -0.5, v41 :: v_dual_add_f32 v2, v4, v3
	v_fma_f32 v4, -0.5, v5, v58
	v_fma_f32 v5, -0.5, v9, v59
	;; [unrolled: 1-line block ×3, first 2 shown]
	v_sub_f32_e32 v42, v24, v26
	v_add_f32_e32 v3, v8, v18
	v_dual_add_f32 v8, v12, v17 :: v_dual_add_f32 v15, v15, v19
	v_fmamk_f32 v19, v23, 0x3f5db3d7, v4
	v_add_f32_e32 v50, v63, v24
	v_fmamk_f32 v20, v25, 0xbf5db3d7, v5
	v_fmac_f32_e32 v5, 0x3f5db3d7, v25
	v_fmamk_f32 v27, v71, 0x3f5db3d7, v0
	v_add_f32_e32 v17, v56, v21
	v_fmamk_f32 v21, v28, 0x3f5db3d7, v60
	v_fma_f32 v12, -0.5, v40, v62
	v_add_f32_e32 v24, v24, v26
	v_fma_f32 v64, -0.5, v52, v64
	v_fmac_f32_e32 v4, 0xbf5db3d7, v23
	v_fmamk_f32 v22, v38, 0xbf5db3d7, v61
	v_fmamk_f32 v23, v42, 0x3f5db3d7, v12
	v_fmac_f32_e32 v61, 0x3f5db3d7, v38
	v_dual_add_f32 v9, v50, v26 :: v_dual_add_f32 v6, v16, v13
	v_fma_f32 v13, -0.5, v24, v63
	v_fmac_f32_e32 v60, 0xbf5db3d7, v28
	v_fmac_f32_e32 v12, 0xbf5db3d7, v42
	v_fmamk_f32 v25, v53, 0x3f5db3d7, v64
	v_fmamk_f32 v26, v55, 0xbf5db3d7, v65
	;; [unrolled: 1-line block ×3, first 2 shown]
	v_fmac_f32_e32 v13, 0x3f5db3d7, v51
	v_add_f32_e32 v16, v54, v39
	v_fmac_f32_e32 v65, 0x3f5db3d7, v55
	v_add_f32_e32 v18, v72, v43
	v_fmamk_f32 v28, v73, 0xbf5db3d7, v1
	v_fmac_f32_e32 v64, 0xbf5db3d7, v53
	v_fmac_f32_e32 v0, 0xbf5db3d7, v71
	;; [unrolled: 1-line block ×3, first 2 shown]
	ds_store_2addr_b64 v68, v[2:3], v[19:20] offset1:18
	ds_store_b64 v68, v[4:5] offset:288
	ds_store_2addr_b64 v69, v[6:7], v[21:22] offset1:18
	ds_store_b64 v69, v[60:61] offset:288
	;; [unrolled: 2-line block ×5, first 2 shown]
	global_wb scope:SCOPE_SE
	s_wait_dscnt 0x0
	s_barrier_signal -1
	s_barrier_wait -1
	global_inv scope:SCOPE_SE
	ds_load_2addr_b64 v[2:5], v46 offset1:126
	ds_load_2addr_b64 v[26:29], v44 offset0:14 offset1:140
	ds_load_2addr_b64 v[22:25], v45 offset0:28 offset1:154
	;; [unrolled: 1-line block ×6, first 2 shown]
                                        ; implicit-def: $vgpr37
                                        ; implicit-def: $vgpr39
                                        ; implicit-def: $vgpr45
                                        ; implicit-def: $vgpr43
                                        ; implicit-def: $vgpr41
	s_and_saveexec_b32 s1, s0
	s_cbranch_execz .LBB0_23
; %bb.22:
	ds_load_b64 v[0:1], v46 offset:2016
	ds_load_b64 v[34:35], v46 offset:4176
	;; [unrolled: 1-line block ×7, first 2 shown]
.LBB0_23:
	s_wait_alu 0xfffe
	s_or_b32 exec_lo, exec_lo, s1
	v_mul_lo_u16 v49, v49, 19
	v_mul_lo_u16 v48, v48, 19
	s_delay_alu instid0(VALU_DEP_2) | instskip(NEXT) | instid1(VALU_DEP_2)
	v_lshrrev_b16 v72, 10, v49
	v_lshrrev_b16 v73, 10, v48
	s_delay_alu instid0(VALU_DEP_2) | instskip(NEXT) | instid1(VALU_DEP_2)
	v_mul_lo_u16 v49, v72, 54
	v_mul_lo_u16 v48, v73, 54
	s_delay_alu instid0(VALU_DEP_2) | instskip(NEXT) | instid1(VALU_DEP_2)
	v_sub_nc_u16 v49, v30, v49
	v_sub_nc_u16 v48, v47, v48
	s_delay_alu instid0(VALU_DEP_2) | instskip(NEXT) | instid1(VALU_DEP_2)
	v_and_b32_e32 v74, 0xff, v49
	v_and_b32_e32 v75, 0xff, v48
	s_delay_alu instid0(VALU_DEP_2) | instskip(NEXT) | instid1(VALU_DEP_1)
	v_mul_u32_u24_e32 v49, 6, v74
	v_lshlrev_b32_e32 v56, 3, v49
	s_clause 0x1
	global_load_b128 v[48:51], v56, s[4:5] offset:416
	global_load_b128 v[52:55], v56, s[4:5] offset:432
	v_and_b32_e32 v72, 0xffff, v72
	s_wait_loadcnt_dscnt 0x105
	v_dual_mul_f32 v76, v49, v27 :: v_dual_and_b32 v73, 0xffff, v73
	s_wait_loadcnt_dscnt 0x3
	v_mul_f32_e32 v78, v53, v19
	v_mul_u32_u24_e32 v57, 6, v75
	v_mul_f32_e32 v77, v51, v23
	v_mul_u32_u24_e32 v73, 0xbd0, v73
	v_mul_f32_e32 v51, v51, v22
	s_delay_alu instid0(VALU_DEP_4)
	v_dual_mul_f32 v49, v49, v26 :: v_dual_lshlrev_b32 v68, 3, v57
	s_wait_dscnt 0x2
	v_dual_mul_f32 v79, v55, v11 :: v_dual_lshlrev_b32 v74, 3, v74
	s_clause 0x3
	global_load_b128 v[56:59], v56, s[4:5] offset:448
	global_load_b128 v[60:63], v68, s[4:5] offset:416
	;; [unrolled: 1-line block ×4, first 2 shown]
	v_lshlrev_b32_e32 v75, 3, v75
	v_mul_f32_e32 v53, v53, v18
	v_mul_u32_u24_e32 v72, 0xbd0, v72
	v_mul_f32_e32 v55, v55, v10
	v_fma_f32 v22, v50, v22, -v77
	v_fma_f32 v18, v52, v18, -v78
	v_fmac_f32_e32 v53, v52, v19
	v_add3_u32 v72, 0, v72, v74
	v_fma_f32 v10, v54, v10, -v79
	v_fmac_f32_e32 v55, v54, v11
	v_fma_f32 v26, v48, v26, -v76
	global_wb scope:SCOPE_SE
	s_wait_loadcnt_dscnt 0x0
	v_add_nc_u32_e32 v74, 0x400, v72
	s_barrier_signal -1
	s_barrier_wait -1
	global_inv scope:SCOPE_SE
	v_dual_mul_f32 v81, v59, v15 :: v_dual_mul_f32 v82, v61, v29
	v_mul_f32_e32 v84, v21, v65
	v_add3_u32 v73, 0, v73, v75
	v_dual_mul_f32 v80, v57, v7 :: v_dual_mul_f32 v59, v59, v14
	v_mul_f32_e32 v86, v9, v69
	v_mul_f32_e32 v57, v57, v6
	s_delay_alu instid0(VALU_DEP_4)
	v_add_nc_u32_e32 v75, 0x400, v73
	v_mul_f32_e32 v85, v13, v67
	v_mul_f32_e32 v69, v8, v69
	v_fma_f32 v6, v56, v6, -v80
	v_fma_f32 v8, v8, v68, -v86
	v_mul_f32_e32 v87, v17, v71
	v_mul_f32_e32 v65, v20, v65
	v_fmac_f32_e32 v59, v58, v15
	v_fma_f32 v11, v60, v28, -v82
	v_fma_f32 v15, v20, v64, -v84
	v_fmac_f32_e32 v49, v48, v27
	v_mul_f32_e32 v83, v63, v25
	v_mul_f32_e32 v63, v63, v24
	v_fmac_f32_e32 v69, v9, v68
	v_fma_f32 v9, v16, v70, -v87
	v_mul_f32_e32 v67, v12, v67
	v_add_f32_e32 v19, v22, v6
	v_sub_f32_e32 v6, v22, v6
	v_add_f32_e32 v22, v18, v10
	v_sub_f32_e32 v10, v10, v18
	v_fma_f32 v12, v12, v66, -v85
	v_fmac_f32_e32 v51, v50, v23
	v_fmac_f32_e32 v63, v62, v25
	v_dual_sub_f32 v18, v55, v53 :: v_dual_fmac_f32 v57, v56, v7
	v_dual_add_f32 v52, v10, v6 :: v_dual_mul_f32 v61, v61, v28
	v_fma_f32 v7, v58, v14, -v81
	v_add_f32_e32 v28, v15, v12
	v_sub_f32_e32 v12, v12, v15
	v_mul_f32_e32 v71, v16, v71
	v_add_f32_e32 v16, v49, v59
	v_fma_f32 v14, v62, v24, -v83
	v_dual_add_f32 v24, v11, v9 :: v_dual_fmac_f32 v67, v13, v66
	v_add_f32_e32 v13, v26, v7
	v_sub_f32_e32 v7, v26, v7
	s_delay_alu instid0(VALU_DEP_4) | instskip(SKIP_1) | instid1(VALU_DEP_4)
	v_dual_add_f32 v26, v14, v8 :: v_dual_sub_f32 v9, v11, v9
	v_sub_f32_e32 v8, v14, v8
	v_add_f32_e32 v48, v19, v13
	v_add_f32_e32 v20, v51, v57
	s_delay_alu instid0(VALU_DEP_4)
	v_dual_add_f32 v56, v26, v24 :: v_dual_fmac_f32 v61, v60, v29
	v_sub_f32_e32 v54, v10, v6
	v_sub_f32_e32 v58, v26, v24
	;; [unrolled: 1-line block ×3, first 2 shown]
	v_dual_sub_f32 v14, v63, v69 :: v_dual_fmac_f32 v71, v17, v70
	v_sub_f32_e32 v24, v24, v28
	v_add_f32_e32 v60, v12, v8
	v_dual_sub_f32 v10, v7, v10 :: v_dual_sub_f32 v17, v49, v59
	v_sub_f32_e32 v62, v12, v8
	v_sub_f32_e32 v12, v9, v12
	v_dual_sub_f32 v50, v19, v13 :: v_dual_add_f32 v23, v53, v55
	v_dual_sub_f32 v8, v8, v9 :: v_dual_fmac_f32 v65, v21, v64
	v_sub_f32_e32 v11, v61, v71
	v_sub_f32_e32 v21, v51, v57
	v_add_f32_e32 v49, v20, v16
	v_sub_f32_e32 v51, v20, v16
	v_sub_f32_e32 v16, v16, v23
	v_dual_sub_f32 v6, v6, v7 :: v_dual_sub_f32 v15, v67, v65
	v_add_f32_e32 v25, v61, v71
	v_add_f32_e32 v29, v65, v67
	v_dual_sub_f32 v19, v22, v19 :: v_dual_mul_f32 v24, 0x3f4a47b2, v24
	v_add_f32_e32 v27, v63, v69
	v_dual_sub_f32 v20, v23, v20 :: v_dual_add_f32 v7, v52, v7
	v_mul_f32_e32 v16, 0x3f4a47b2, v16
	v_mul_f32_e32 v52, 0xbf08b237, v54
	;; [unrolled: 1-line block ×3, first 2 shown]
	v_sub_f32_e32 v63, v15, v14
	v_dual_add_f32 v9, v60, v9 :: v_dual_mul_f32 v60, 0xbf08b237, v62
	v_dual_add_f32 v61, v15, v14 :: v_dual_sub_f32 v14, v14, v11
	v_dual_add_f32 v53, v18, v21 :: v_dual_mul_f32 v62, 0x3f5ff5aa, v8
	v_dual_sub_f32 v55, v18, v21 :: v_dual_sub_f32 v18, v17, v18
	v_dual_sub_f32 v13, v13, v22 :: v_dual_add_f32 v28, v28, v56
	v_dual_add_f32 v22, v22, v48 :: v_dual_sub_f32 v21, v21, v17
	v_dual_mul_f32 v48, 0x3d64c772, v19 :: v_dual_add_f32 v57, v27, v25
	v_sub_f32_e32 v59, v27, v25
	s_delay_alu instid0(VALU_DEP_4) | instskip(SKIP_4) | instid1(VALU_DEP_4)
	v_dual_sub_f32 v25, v25, v29 :: v_dual_add_f32 v4, v28, v4
	v_mul_f32_e32 v13, 0x3f4a47b2, v13
	v_mul_f32_e32 v56, 0x3d64c772, v26
	v_dual_add_f32 v2, v22, v2 :: v_dual_sub_f32 v27, v29, v27
	v_fma_f32 v48, 0x3f3bfb3b, v50, -v48
	v_fmamk_f32 v19, v19, 0x3d64c772, v13
	v_fma_f32 v13, 0xbf3bfb3b, v50, -v13
	v_dual_fmamk_f32 v50, v10, 0x3eae86e6, v52 :: v_dual_add_f32 v23, v23, v49
	v_add_f32_e32 v17, v53, v17
	v_fma_f32 v52, 0x3f5ff5aa, v6, -v52
	v_dual_fmamk_f32 v6, v26, 0x3d64c772, v24 :: v_dual_mul_f32 v49, 0x3d64c772, v20
	v_fmamk_f32 v20, v20, 0x3d64c772, v16
	v_fma_f32 v26, 0x3f3bfb3b, v58, -v56
	v_mul_f32_e32 v25, 0x3f4a47b2, v25
	v_fma_f32 v56, 0x3f5ff5aa, v8, -v60
	v_fmamk_f32 v8, v22, 0xbf955555, v2
	v_mul_f32_e32 v53, 0xbf08b237, v55
	v_fma_f32 v49, 0x3f3bfb3b, v51, -v49
	v_fma_f32 v16, 0xbf3bfb3b, v51, -v16
	s_delay_alu instid0(VALU_DEP_4) | instskip(NEXT) | instid1(VALU_DEP_4)
	v_dual_mul_f32 v55, 0x3f5ff5aa, v21 :: v_dual_add_f32 v22, v13, v8
	v_fmamk_f32 v51, v18, 0x3eae86e6, v53
	v_fma_f32 v21, 0x3f5ff5aa, v21, -v53
	v_fma_f32 v53, 0xbeae86e6, v10, -v54
	v_fmamk_f32 v10, v27, 0x3d64c772, v25
	v_fmac_f32_e32 v50, 0x3ee1c552, v7
	v_add_f32_e32 v3, v23, v3
	v_fma_f32 v24, 0xbf3bfb3b, v58, -v24
	v_fmamk_f32 v54, v12, 0x3eae86e6, v60
	v_fma_f32 v58, 0xbeae86e6, v12, -v62
	v_dual_add_f32 v29, v29, v57 :: v_dual_fmac_f32 v52, 0x3ee1c552, v7
	v_fmamk_f32 v12, v23, 0xbf955555, v3
	v_fmac_f32_e32 v53, 0x3ee1c552, v7
	v_fmamk_f32 v7, v28, 0xbf955555, v4
	s_delay_alu instid0(VALU_DEP_3) | instskip(SKIP_4) | instid1(VALU_DEP_4)
	v_dual_fmac_f32 v21, 0x3ee1c552, v17 :: v_dual_add_f32 v16, v16, v12
	v_fma_f32 v18, 0xbeae86e6, v18, -v55
	v_sub_f32_e32 v15, v11, v15
	v_add_f32_e32 v11, v61, v11
	v_dual_add_f32 v28, v6, v7 :: v_dual_fmac_f32 v51, 0x3ee1c552, v17
	v_fmac_f32_e32 v18, 0x3ee1c552, v17
	v_mul_f32_e32 v61, 0xbf08b237, v63
	v_mul_f32_e32 v63, 0x3f5ff5aa, v14
	v_add_f32_e32 v17, v19, v8
	v_mul_f32_e32 v57, 0x3d64c772, v27
	v_add_f32_e32 v5, v29, v5
	v_dual_fmamk_f32 v55, v15, 0x3eae86e6, v61 :: v_dual_add_f32 v26, v26, v7
	v_fma_f32 v25, 0xbf3bfb3b, v59, -v25
	v_add_f32_e32 v6, v51, v17
	v_fma_f32 v27, 0x3f3bfb3b, v59, -v57
	v_fma_f32 v59, 0xbeae86e6, v15, -v63
	v_dual_add_f32 v15, v48, v8 :: v_dual_add_f32 v8, v18, v22
	v_fma_f32 v57, 0x3f5ff5aa, v14, -v61
	v_fmamk_f32 v14, v29, 0xbf955555, v5
	v_dual_fmac_f32 v54, 0x3ee1c552, v9 :: v_dual_add_f32 v19, v20, v12
	s_delay_alu instid0(VALU_DEP_3) | instskip(SKIP_1) | instid1(VALU_DEP_4)
	v_dual_add_f32 v20, v49, v12 :: v_dual_fmac_f32 v57, 0x3ee1c552, v11
	v_fmac_f32_e32 v56, 0x3ee1c552, v9
	v_dual_fmac_f32 v58, 0x3ee1c552, v9 :: v_dual_add_f32 v29, v10, v14
	v_sub_f32_e32 v9, v16, v53
	v_sub_f32_e32 v10, v15, v21
	v_add_f32_e32 v12, v21, v15
	v_add_f32_e32 v15, v53, v16
	v_sub_f32_e32 v16, v17, v51
	v_fmac_f32_e32 v55, 0x3ee1c552, v11
	v_fmac_f32_e32 v59, 0x3ee1c552, v11
	v_add_f32_e32 v27, v27, v14
	v_add_f32_e32 v49, v25, v14
	v_sub_f32_e32 v14, v22, v18
	v_sub_f32_e32 v22, v26, v57
	v_add_f32_e32 v48, v24, v7
	v_add_f32_e32 v24, v57, v26
	v_sub_f32_e32 v7, v19, v50
	v_add_f32_e32 v11, v52, v20
	v_sub_f32_e32 v13, v20, v52
	v_dual_add_f32 v17, v50, v19 :: v_dual_add_f32 v18, v55, v28
	v_dual_sub_f32 v28, v28, v55 :: v_dual_sub_f32 v19, v29, v54
	v_dual_add_f32 v20, v59, v48 :: v_dual_sub_f32 v21, v49, v58
	v_add_f32_e32 v23, v56, v27
	v_dual_sub_f32 v25, v27, v56 :: v_dual_sub_f32 v26, v48, v59
	v_add_f32_e32 v27, v58, v49
	v_add_f32_e32 v29, v54, v29
	ds_store_2addr_b64 v72, v[2:3], v[6:7] offset1:54
	ds_store_2addr_b64 v72, v[8:9], v[10:11] offset0:108 offset1:162
	ds_store_2addr_b64 v74, v[12:13], v[14:15] offset0:88 offset1:142
	ds_store_b64 v72, v[16:17] offset:2592
	ds_store_2addr_b64 v73, v[4:5], v[18:19] offset1:54
	ds_store_2addr_b64 v73, v[20:21], v[22:23] offset0:108 offset1:162
	ds_store_2addr_b64 v75, v[24:25], v[26:27] offset0:88 offset1:142
	ds_store_b64 v73, v[28:29] offset:2592
	s_and_saveexec_b32 s1, s0
	s_cbranch_execz .LBB0_25
; %bb.24:
	v_lshrrev_b16 v2, 1, v31
	s_delay_alu instid0(VALU_DEP_1) | instskip(NEXT) | instid1(VALU_DEP_1)
	v_and_b32_e32 v2, 0xffff, v2
	v_mul_u32_u24_e32 v2, 0x97b5, v2
	s_delay_alu instid0(VALU_DEP_1) | instskip(NEXT) | instid1(VALU_DEP_1)
	v_lshrrev_b32_e32 v2, 20, v2
	v_mul_lo_u16 v2, v2, 54
	s_delay_alu instid0(VALU_DEP_1) | instskip(NEXT) | instid1(VALU_DEP_1)
	v_sub_nc_u16 v2, v31, v2
	v_and_b32_e32 v14, 0xffff, v2
	s_delay_alu instid0(VALU_DEP_1) | instskip(NEXT) | instid1(VALU_DEP_1)
	v_mul_u32_u24_e32 v2, 6, v14
	v_lshlrev_b32_e32 v10, 3, v2
	s_clause 0x2
	global_load_b128 v[2:5], v10, s[4:5] offset:416
	global_load_b128 v[6:9], v10, s[4:5] offset:448
	;; [unrolled: 1-line block ×3, first 2 shown]
	s_wait_loadcnt 0x1
	v_dual_mul_f32 v21, v37, v5 :: v_dual_mul_f32 v22, v43, v7
	v_mul_f32_e32 v5, v36, v5
	s_wait_loadcnt 0x0
	v_mul_f32_e32 v19, v39, v13
	v_lshl_add_u32 v14, v14, 3, 0
	v_mul_f32_e32 v17, v35, v3
	v_dual_mul_f32 v20, v41, v11 :: v_dual_mul_f32 v13, v38, v13
	s_delay_alu instid0(VALU_DEP_3)
	v_dual_mul_f32 v18, v45, v9 :: v_dual_add_nc_u32 v15, 0x2c00, v14
	v_fma_f32 v21, v36, v4, -v21
	v_fma_f32 v22, v42, v6, -v22
	v_dual_mul_f32 v7, v42, v7 :: v_dual_add_nc_u32 v16, 0x3000, v14
	v_mul_f32_e32 v9, v44, v9
	v_fma_f32 v17, v34, v2, -v17
	v_fma_f32 v18, v44, v8, -v18
	v_mul_f32_e32 v3, v34, v3
	v_fma_f32 v19, v38, v12, -v19
	v_fma_f32 v20, v40, v10, -v20
	v_mul_f32_e32 v11, v40, v11
	v_fmac_f32_e32 v7, v43, v6
	v_sub_f32_e32 v6, v21, v22
	v_fmac_f32_e32 v5, v37, v4
	v_fmac_f32_e32 v3, v35, v2
	v_dual_fmac_f32 v13, v39, v12 :: v_dual_sub_f32 v2, v17, v18
	v_sub_f32_e32 v4, v19, v20
	s_delay_alu instid0(VALU_DEP_4) | instskip(SKIP_2) | instid1(VALU_DEP_2)
	v_add_f32_e32 v12, v5, v7
	v_fmac_f32_e32 v11, v41, v10
	v_dual_add_f32 v17, v17, v18 :: v_dual_add_f32 v18, v20, v19
	v_dual_fmac_f32 v9, v45, v8 :: v_dual_add_f32 v10, v11, v13
	s_delay_alu instid0(VALU_DEP_1) | instskip(SKIP_1) | instid1(VALU_DEP_3)
	v_add_f32_e32 v8, v3, v9
	v_sub_f32_e32 v3, v3, v9
	v_dual_sub_f32 v9, v13, v11 :: v_dual_sub_f32 v20, v10, v12
	v_sub_f32_e32 v5, v5, v7
	v_sub_f32_e32 v7, v2, v4
	;; [unrolled: 1-line block ×3, first 2 shown]
	v_add_f32_e32 v19, v21, v22
	v_sub_f32_e32 v11, v4, v6
	v_add_f32_e32 v4, v4, v6
	v_dual_add_f32 v21, v12, v8 :: v_dual_sub_f32 v6, v6, v2
	v_sub_f32_e32 v8, v12, v8
	v_sub_f32_e32 v22, v17, v18
	s_delay_alu instid0(VALU_DEP_4) | instskip(NEXT) | instid1(VALU_DEP_4)
	v_add_f32_e32 v2, v4, v2
	v_add_f32_e32 v10, v10, v21
	v_mul_f32_e32 v4, 0x3f4a47b2, v13
	v_dual_mul_f32 v13, 0x3d64c772, v20 :: v_dual_add_f32 v24, v19, v17
	v_sub_f32_e32 v25, v3, v9
	v_sub_f32_e32 v26, v9, v5
	s_delay_alu instid0(VALU_DEP_4) | instskip(SKIP_4) | instid1(VALU_DEP_4)
	v_dual_add_f32 v9, v9, v5 :: v_dual_fmamk_f32 v20, v20, 0x3d64c772, v4
	v_dual_sub_f32 v12, v19, v17 :: v_dual_mul_f32 v11, 0xbf08b237, v11
	v_sub_f32_e32 v23, v18, v19
	v_dual_add_f32 v18, v18, v24 :: v_dual_sub_f32 v5, v5, v3
	v_fma_f32 v4, 0xbf3bfb3b, v8, -v4
	v_dual_fmamk_f32 v24, v7, 0x3eae86e6, v11 :: v_dual_add_f32 v3, v9, v3
	v_mul_f32_e32 v9, 0x3f5ff5aa, v6
	s_delay_alu instid0(VALU_DEP_4)
	v_add_f32_e32 v0, v0, v18
	v_add_f32_e32 v1, v1, v10
	v_fma_f32 v8, 0x3f3bfb3b, v8, -v13
	v_fma_f32 v6, 0x3f5ff5aa, v6, -v11
	;; [unrolled: 1-line block ×3, first 2 shown]
	v_fmac_f32_e32 v24, 0x3ee1c552, v2
	v_fmamk_f32 v9, v10, 0xbf955555, v1
	v_mul_f32_e32 v17, 0x3f4a47b2, v22
	v_mul_f32_e32 v22, 0x3f5ff5aa, v5
	v_fmamk_f32 v10, v18, 0xbf955555, v0
	s_delay_alu instid0(VALU_DEP_4) | instskip(NEXT) | instid1(VALU_DEP_4)
	v_dual_mul_f32 v19, 0x3d64c772, v23 :: v_dual_add_f32 v8, v8, v9
	v_fmamk_f32 v23, v23, 0x3d64c772, v17
	v_fma_f32 v7, 0xbf3bfb3b, v12, -v17
	v_fma_f32 v17, 0xbeae86e6, v25, -v22
	v_fmac_f32_e32 v6, 0x3ee1c552, v2
	s_delay_alu instid0(VALU_DEP_2) | instskip(SKIP_1) | instid1(VALU_DEP_1)
	v_dual_add_f32 v18, v23, v10 :: v_dual_fmac_f32 v17, 0x3ee1c552, v3
	v_mul_f32_e32 v21, 0xbf08b237, v26
	v_fmamk_f32 v26, v25, 0x3eae86e6, v21
	v_fma_f32 v21, 0x3f5ff5aa, v5, -v21
	v_fma_f32 v5, 0x3f3bfb3b, v12, -v19
	v_add_f32_e32 v19, v7, v10
	v_sub_f32_e32 v7, v8, v6
	s_delay_alu instid0(VALU_DEP_4) | instskip(SKIP_3) | instid1(VALU_DEP_3)
	v_fmac_f32_e32 v21, 0x3ee1c552, v3
	v_dual_fmac_f32 v27, 0x3ee1c552, v2 :: v_dual_add_f32 v2, v20, v9
	v_add_f32_e32 v20, v5, v10
	v_dual_add_f32 v10, v17, v19 :: v_dual_add_f32 v11, v4, v9
	v_dual_fmac_f32 v26, 0x3ee1c552, v3 :: v_dual_add_f32 v3, v24, v2
	v_sub_f32_e32 v13, v2, v24
	v_dual_add_f32 v9, v6, v8 :: v_dual_sub_f32 v4, v19, v17
	s_delay_alu instid0(VALU_DEP_3)
	v_add_f32_e32 v12, v26, v18
	v_sub_f32_e32 v8, v20, v21
	v_dual_add_f32 v6, v21, v20 :: v_dual_add_f32 v5, v27, v11
	v_dual_sub_f32 v2, v18, v26 :: v_dual_sub_f32 v11, v11, v27
	ds_store_2addr_b64 v15, v[0:1], v[12:13] offset0:104 offset1:158
	ds_store_2addr_b64 v16, v[10:11], v[8:9] offset0:84 offset1:138
	;; [unrolled: 1-line block ×3, first 2 shown]
	ds_store_b64 v14, v[2:3] offset:14688
.LBB0_25:
	s_wait_alu 0xfffe
	s_or_b32 exec_lo, exec_lo, s1
	v_dual_mov_b32 v8, 0 :: v_dual_lshlrev_b32 v7, 2, v30
	global_wb scope:SCOPE_SE
	s_wait_dscnt 0x0
	s_barrier_signal -1
	s_barrier_wait -1
	global_inv scope:SCOPE_SE
	v_lshlrev_b64_e32 v[0:1], 3, v[7:8]
	s_delay_alu instid0(VALU_DEP_1) | instskip(SKIP_1) | instid1(VALU_DEP_2)
	v_add_co_u32 v0, s0, s4, v0
	s_wait_alu 0xf1ff
	v_add_co_ci_u32_e64 v1, s0, s5, v1, s0
	s_clause 0x1
	global_load_b128 v[11:14], v[0:1], off offset:3008
	global_load_b128 v[15:18], v[0:1], off offset:3024
	v_lshlrev_b32_e32 v7, 2, v47
	v_add_nc_u32_e32 v9, 0x400, v46
	v_add_nc_u32_e32 v10, 0x2000, v46
	;; [unrolled: 1-line block ×3, first 2 shown]
	s_delay_alu instid0(VALU_DEP_4) | instskip(SKIP_1) | instid1(VALU_DEP_2)
	v_lshlrev_b64_e32 v[2:3], 3, v[7:8]
	v_lshlrev_b32_e32 v7, 2, v31
	v_add_co_u32 v0, s0, s4, v2
	s_wait_alu 0xf1ff
	s_delay_alu instid0(VALU_DEP_3) | instskip(NEXT) | instid1(VALU_DEP_3)
	v_add_co_ci_u32_e64 v1, s0, s5, v3, s0
	v_lshlrev_b64_e32 v[2:3], 3, v[7:8]
	s_clause 0x1
	global_load_b128 v[19:22], v[0:1], off offset:3008
	global_load_b128 v[23:26], v[0:1], off offset:3024
	v_add_co_u32 v0, s0, s4, v2
	s_wait_alu 0xf1ff
	v_add_co_ci_u32_e64 v1, s0, s5, v3, s0
	s_clause 0x1
	global_load_b128 v[34:37], v[0:1], off offset:3008
	global_load_b128 v[38:41], v[0:1], off offset:3024
	ds_load_2addr_b64 v[0:3], v9 offset0:124 offset1:250
	v_add_nc_u32_e32 v4, 0x1000, v46
	ds_load_2addr_b64 v[42:45], v4 offset0:118 offset1:244
	ds_load_2addr_b64 v[4:7], v46 offset1:126
	ds_load_2addr_b64 v[47:50], v10 offset0:110 offset1:236
	v_add_nc_u32_e32 v10, 0xc00, v46
	v_add_nc_u32_e32 v29, 0x1800, v46
	;; [unrolled: 1-line block ×3, first 2 shown]
	ds_load_2addr_b64 v[51:54], v27 offset0:106 offset1:232
	v_add_nc_u32_e32 v65, 0x1c00, v46
	s_wait_loadcnt_dscnt 0x401
	v_mul_f32_e32 v67, v16, v48
	ds_load_2addr_b32 v[27:28], v10 offset0:240 offset1:241
	ds_load_2addr_b64 v[55:58], v29 offset0:114 offset1:240
	ds_load_2addr_b64 v[59:62], v31 offset0:102 offset1:228
	v_mul_f32_e32 v29, v12, v3
	v_mul_f32_e32 v12, v12, v2
	v_dual_mul_f32 v16, v16, v47 :: v_dual_add_nc_u32 v63, 0x1400, v46
	v_dual_mul_f32 v31, v14, v45 :: v_dual_add_nc_u32 v66, 0x2400, v46
	v_mul_f32_e32 v14, v14, v44
	v_fma_f32 v2, v11, v2, -v29
	v_fmac_f32_e32 v12, v11, v3
	v_fma_f32 v11, v15, v47, -v67
	v_fmac_f32_e32 v16, v15, v48
	v_add_nc_u32_e32 v64, 0x2c00, v46
	v_fma_f32 v3, v13, v44, -v31
	v_fmac_f32_e32 v14, v13, v45
	global_wb scope:SCOPE_SE
	s_wait_loadcnt_dscnt 0x0
	s_barrier_signal -1
	s_barrier_wait -1
	v_mul_f32_e32 v13, v28, v20
	v_dual_mul_f32 v15, v20, v27 :: v_dual_mul_f32 v68, v18, v54
	v_mul_f32_e32 v18, v18, v53
	v_mul_f32_e32 v20, v55, v22
	s_delay_alu instid0(VALU_DEP_4) | instskip(NEXT) | instid1(VALU_DEP_4)
	v_fma_f32 v13, v19, v27, -v13
	v_fmac_f32_e32 v15, v28, v19
	v_fma_f32 v29, v17, v53, -v68
	v_fmac_f32_e32 v18, v17, v54
	v_dual_mul_f32 v17, v56, v22 :: v_dual_mul_f32 v22, v50, v24
	v_dual_mul_f32 v24, v49, v24 :: v_dual_mul_f32 v31, v60, v26
	v_mul_f32_e32 v26, v59, v26
	s_delay_alu instid0(VALU_DEP_3) | instskip(NEXT) | instid1(VALU_DEP_4)
	v_fma_f32 v17, v55, v21, -v17
	v_fma_f32 v19, v49, v23, -v22
	s_delay_alu instid0(VALU_DEP_4)
	v_fmac_f32_e32 v24, v50, v23
	v_fma_f32 v27, v59, v25, -v31
	v_fmac_f32_e32 v26, v60, v25
	v_mul_f32_e32 v22, v42, v35
	v_mul_f32_e32 v23, v58, v37
	v_dual_fmac_f32 v20, v56, v21 :: v_dual_mul_f32 v31, v51, v39
	v_mul_f32_e32 v21, v43, v35
	v_dual_mul_f32 v25, v57, v37 :: v_dual_mul_f32 v28, v52, v39
	v_mul_f32_e32 v35, v62, v41
	v_mul_f32_e32 v37, v61, v41
	v_dual_add_f32 v39, v4, v2 :: v_dual_sub_f32 v48, v29, v11
	v_add_f32_e32 v41, v3, v11
	v_dual_sub_f32 v47, v2, v3 :: v_dual_sub_f32 v50, v3, v2
	v_dual_add_f32 v49, v2, v29 :: v_dual_add_f32 v54, v5, v12
	v_dual_sub_f32 v53, v11, v29 :: v_dual_sub_f32 v60, v12, v14
	v_dual_add_f32 v55, v14, v16 :: v_dual_add_f32 v68, v12, v18
	v_dual_sub_f32 v67, v18, v16 :: v_dual_fmac_f32 v22, v43, v34
	v_dual_sub_f32 v44, v12, v18 :: v_dual_sub_f32 v45, v14, v16
	v_dual_sub_f32 v56, v2, v29 :: v_dual_sub_f32 v59, v3, v11
	;; [unrolled: 1-line block ×3, first 2 shown]
	v_fma_f32 v21, v42, v34, -v21
	v_fma_f32 v23, v57, v36, -v23
	v_dual_fmac_f32 v25, v58, v36 :: v_dual_add_f32 v34, v39, v3
	v_fma_f32 v28, v51, v38, -v28
	v_dual_fmac_f32 v31, v52, v38 :: v_dual_add_f32 v38, v50, v53
	v_fma_f32 v36, v61, v40, -v35
	v_fma_f32 v2, -0.5, v41, v4
	v_dual_add_f32 v35, v47, v48 :: v_dual_add_f32 v14, v54, v14
	v_fma_f32 v4, -0.5, v49, v4
	v_fma_f32 v3, -0.5, v55, v5
	;; [unrolled: 1-line block ×3, first 2 shown]
	v_dual_add_f32 v41, v6, v13 :: v_dual_add_f32 v42, v17, v19
	v_dual_sub_f32 v49, v27, v19 :: v_dual_add_f32 v54, v20, v24
	v_add_f32_e32 v53, v7, v15
	v_dual_fmac_f32 v37, v62, v40 :: v_dual_add_f32 v40, v12, v69
	v_dual_add_f32 v39, v60, v67 :: v_dual_sub_f32 v48, v13, v17
	v_dual_sub_f32 v43, v15, v26 :: v_dual_add_f32 v50, v13, v27
	v_dual_sub_f32 v47, v20, v24 :: v_dual_sub_f32 v52, v19, v27
	v_dual_sub_f32 v51, v17, v13 :: v_dual_sub_f32 v58, v15, v20
	v_dual_add_f32 v61, v15, v26 :: v_dual_sub_f32 v62, v20, v15
	v_dual_sub_f32 v67, v24, v26 :: v_dual_add_f32 v34, v34, v11
	v_sub_f32_e32 v55, v13, v27
	v_dual_sub_f32 v57, v17, v19 :: v_dual_sub_f32 v60, v26, v24
	v_dual_fmamk_f32 v11, v44, 0x3f737871, v2 :: v_dual_add_f32 v68, v14, v16
	v_dual_fmamk_f32 v13, v45, 0xbf737871, v4 :: v_dual_fmamk_f32 v12, v56, 0xbf737871, v3
	v_dual_fmac_f32 v4, 0x3f737871, v45 :: v_dual_fmac_f32 v3, 0x3f737871, v56
	v_dual_fmamk_f32 v14, v59, 0x3f737871, v5 :: v_dual_add_f32 v41, v41, v17
	v_fma_f32 v15, -0.5, v42, v6
	v_add_f32_e32 v20, v53, v20
	v_fma_f32 v16, -0.5, v54, v7
	v_fmac_f32_e32 v7, -0.5, v61
	v_dual_fmac_f32 v5, 0xbf737871, v59 :: v_dual_add_f32 v42, v48, v49
	v_add_f32_e32 v48, v51, v52
	v_fma_f32 v6, -0.5, v50, v6
	v_dual_add_f32 v50, v62, v67 :: v_dual_add_f32 v51, v0, v21
	v_dual_add_f32 v52, v23, v28 :: v_dual_sub_f32 v53, v22, v37
	v_dual_add_f32 v70, v25, v31 :: v_dual_sub_f32 v73, v22, v25
	v_fmac_f32_e32 v2, 0xbf737871, v44
	v_dual_add_f32 v61, v21, v36 :: v_dual_sub_f32 v62, v23, v21
	v_dual_sub_f32 v72, v23, v28 :: v_dual_add_f32 v75, v22, v37
	v_dual_add_f32 v49, v58, v60 :: v_dual_sub_f32 v54, v25, v31
	v_dual_sub_f32 v60, v36, v28 :: v_dual_add_f32 v69, v1, v22
	v_dual_sub_f32 v76, v25, v22 :: v_dual_add_f32 v17, v34, v29
	v_dual_fmac_f32 v4, 0xbf167918, v44 :: v_dual_add_f32 v29, v41, v19
	v_dual_fmac_f32 v3, 0x3f167918, v59 :: v_dual_add_f32 v34, v20, v24
	v_fmamk_f32 v19, v43, 0x3f737871, v15
	v_dual_fmac_f32 v15, 0xbf737871, v43 :: v_dual_fmamk_f32 v20, v55, 0xbf737871, v16
	v_dual_sub_f32 v58, v21, v23 :: v_dual_sub_f32 v67, v28, v36
	v_dual_sub_f32 v71, v21, v36 :: v_dual_fmac_f32 v2, 0xbf167918, v45
	v_dual_fmac_f32 v14, 0xbf167918, v56 :: v_dual_add_f32 v41, v51, v23
	v_fma_f32 v23, -0.5, v52, v0
	v_fma_f32 v24, -0.5, v70, v1
	v_dual_sub_f32 v74, v37, v31 :: v_dual_sub_f32 v77, v31, v37
	v_dual_fmac_f32 v11, 0x3f167918, v45 :: v_dual_add_f32 v18, v68, v18
	v_fma_f32 v0, -0.5, v61, v0
	v_dual_fmac_f32 v1, -0.5, v75 :: v_dual_fmac_f32 v4, 0x3e9e377a, v38
	v_dual_fmac_f32 v12, 0xbf167918, v59 :: v_dual_add_f32 v51, v69, v25
	v_fmamk_f32 v21, v47, 0xbf737871, v6
	v_dual_fmamk_f32 v22, v57, 0x3f737871, v7 :: v_dual_add_f32 v45, v62, v67
	v_dual_add_f32 v25, v29, v27 :: v_dual_fmac_f32 v20, 0xbf167918, v57
	v_dual_fmac_f32 v16, 0x3f737871, v55 :: v_dual_add_f32 v29, v41, v28
	v_fmamk_f32 v27, v53, 0x3f737871, v23
	v_fmamk_f32 v28, v71, 0xbf737871, v24
	v_dual_fmac_f32 v13, 0x3f167918, v44 :: v_dual_add_f32 v52, v73, v74
	v_dual_fmac_f32 v7, 0xbf737871, v57 :: v_dual_add_f32 v26, v34, v26
	v_dual_fmac_f32 v11, 0x3e9e377a, v35 :: v_dual_fmac_f32 v14, 0x3e9e377a, v40
	s_delay_alu instid0(VALU_DEP_3)
	v_dual_fmac_f32 v2, 0x3e9e377a, v35 :: v_dual_fmac_f32 v13, 0x3e9e377a, v38
	v_dual_fmac_f32 v23, 0xbf737871, v53 :: v_dual_fmamk_f32 v34, v54, 0xbf737871, v0
	v_fmac_f32_e32 v0, 0x3f737871, v54
	v_dual_fmac_f32 v24, 0x3f737871, v71 :: v_dual_fmamk_f32 v35, v72, 0x3f737871, v1
	v_fmac_f32_e32 v6, 0x3f737871, v47
	v_dual_add_f32 v44, v58, v60 :: v_dual_fmac_f32 v21, 0x3f167918, v43
	v_dual_fmac_f32 v34, 0x3f167918, v53 :: v_dual_add_f32 v31, v51, v31
	v_fmac_f32_e32 v20, 0x3e9e377a, v49
	v_fmac_f32_e32 v22, 0xbf167918, v55
	;; [unrolled: 1-line block ×3, first 2 shown]
	v_dual_fmac_f32 v19, 0x3f167918, v47 :: v_dual_fmac_f32 v16, 0x3f167918, v57
	v_dual_fmac_f32 v15, 0xbf167918, v47 :: v_dual_add_f32 v36, v29, v36
	v_fmac_f32_e32 v27, 0x3f167918, v54
	v_fmac_f32_e32 v28, 0xbf167918, v72
	v_dual_fmac_f32 v5, 0x3f167918, v56 :: v_dual_add_f32 v56, v76, v77
	v_dual_fmac_f32 v0, 0xbf167918, v53 :: v_dual_fmac_f32 v35, 0xbf167918, v71
	v_dual_fmac_f32 v6, 0xbf167918, v43 :: v_dual_fmac_f32 v23, 0xbf167918, v54
	v_dual_fmac_f32 v7, 0x3f167918, v55 :: v_dual_fmac_f32 v24, 0x3f167918, v72
	v_add_f32_e32 v37, v31, v37
	v_dual_fmac_f32 v21, 0x3e9e377a, v48 :: v_dual_fmac_f32 v22, 0x3e9e377a, v50
	v_fmac_f32_e32 v1, 0x3f167918, v71
	v_dual_fmac_f32 v3, 0x3e9e377a, v39 :: v_dual_fmac_f32 v6, 0x3e9e377a, v48
	v_dual_fmac_f32 v19, 0x3e9e377a, v42 :: v_dual_fmac_f32 v16, 0x3e9e377a, v49
	;; [unrolled: 1-line block ×4, first 2 shown]
	v_fmac_f32_e32 v27, 0x3e9e377a, v44
	v_fmac_f32_e32 v28, 0x3e9e377a, v52
	;; [unrolled: 1-line block ×3, first 2 shown]
	global_inv scope:SCOPE_SE
	v_dual_fmac_f32 v7, 0x3e9e377a, v50 :: v_dual_fmac_f32 v0, 0x3e9e377a, v45
	ds_store_2addr_b64 v46, v[17:18], v[25:26] offset1:126
	v_fmac_f32_e32 v23, 0x3e9e377a, v44
	v_fmac_f32_e32 v24, 0x3e9e377a, v52
	;; [unrolled: 1-line block ×3, first 2 shown]
	ds_store_2addr_b64 v63, v[13:14], v[21:22] offset0:116 offset1:242
	ds_store_2addr_b64 v64, v[2:3], v[15:16] offset0:104 offset1:230
	;; [unrolled: 1-line block ×6, first 2 shown]
	ds_store_b64 v46, v[23:24] offset:14112
	global_wb scope:SCOPE_SE
	s_wait_dscnt 0x0
	s_barrier_signal -1
	s_barrier_wait -1
	global_inv scope:SCOPE_SE
	s_and_saveexec_b32 s0, vcc_lo
	s_cbranch_execz .LBB0_27
; %bb.26:
	v_lshl_add_u32 v6, v30, 3, 0
	v_add_nc_u32_e32 v7, 0x7e, v30
	v_mov_b32_e32 v31, v8
	v_add_co_u32 v29, vcc_lo, s8, v32
	s_delay_alu instid0(VALU_DEP_4)
	v_add_nc_u32_e32 v9, 0x400, v6
	ds_load_2addr_b64 v[0:3], v6 offset1:126
	v_lshlrev_b64_e32 v[13:14], 3, v[7:8]
	v_add_nc_u32_e32 v7, 0xfc, v30
	v_lshlrev_b64_e32 v[4:5], 3, v[30:31]
	ds_load_2addr_b64 v[9:12], v9 offset0:124 offset1:250
	s_wait_alu 0xfffd
	v_add_co_ci_u32_e32 v31, vcc_lo, s9, v33, vcc_lo
	v_lshlrev_b64_e32 v[15:16], 3, v[7:8]
	v_add_nc_u32_e32 v7, 0x17a, v30
	v_add_co_u32 v4, vcc_lo, v29, v4
	s_wait_alu 0xfffd
	v_add_co_ci_u32_e32 v5, vcc_lo, v31, v5, vcc_lo
	v_add_co_u32 v13, vcc_lo, v29, v13
	v_lshlrev_b64_e32 v[17:18], 3, v[7:8]
	s_wait_alu 0xfffd
	v_add_co_ci_u32_e32 v14, vcc_lo, v31, v14, vcc_lo
	v_add_co_u32 v15, vcc_lo, v29, v15
	v_add_nc_u32_e32 v7, 0x1f8, v30
	s_wait_alu 0xfffd
	v_add_co_ci_u32_e32 v16, vcc_lo, v31, v16, vcc_lo
	v_add_co_u32 v17, vcc_lo, v29, v17
	s_wait_alu 0xfffd
	v_add_co_ci_u32_e32 v18, vcc_lo, v31, v18, vcc_lo
	v_add_nc_u32_e32 v21, 0xc00, v6
	v_lshlrev_b64_e32 v[19:20], 3, v[7:8]
	v_add_nc_u32_e32 v7, 0x276, v30
	s_wait_dscnt 0x1
	s_clause 0x1
	global_store_b64 v[4:5], v[0:1], off
	global_store_b64 v[13:14], v[2:3], off
	s_wait_dscnt 0x0
	s_clause 0x1
	global_store_b64 v[15:16], v[9:10], off
	global_store_b64 v[17:18], v[11:12], off
	v_add_nc_u32_e32 v9, 0x1400, v6
	ds_load_2addr_b64 v[0:3], v21 offset0:120 offset1:246
	v_add_nc_u32_e32 v21, 0x1c00, v6
	v_lshlrev_b64_e32 v[4:5], 3, v[7:8]
	v_add_nc_u32_e32 v7, 0x2f4, v30
	ds_load_2addr_b64 v[9:12], v9 offset0:116 offset1:242
	v_add_co_u32 v13, vcc_lo, v29, v19
	s_wait_alu 0xfffd
	v_add_co_ci_u32_e32 v14, vcc_lo, v31, v20, vcc_lo
	v_lshlrev_b64_e32 v[15:16], 3, v[7:8]
	v_add_nc_u32_e32 v7, 0x372, v30
	v_add_co_u32 v4, vcc_lo, v29, v4
	s_wait_alu 0xfffd
	v_add_co_ci_u32_e32 v5, vcc_lo, v31, v5, vcc_lo
	s_delay_alu instid0(VALU_DEP_3) | instskip(SKIP_4) | instid1(VALU_DEP_3)
	v_lshlrev_b64_e32 v[17:18], 3, v[7:8]
	v_add_nc_u32_e32 v7, 0x3f0, v30
	v_add_co_u32 v15, vcc_lo, v29, v15
	s_wait_alu 0xfffd
	v_add_co_ci_u32_e32 v16, vcc_lo, v31, v16, vcc_lo
	v_lshlrev_b64_e32 v[19:20], 3, v[7:8]
	v_add_nc_u32_e32 v7, 0x46e, v30
	v_add_co_u32 v17, vcc_lo, v29, v17
	s_wait_alu 0xfffd
	v_add_co_ci_u32_e32 v18, vcc_lo, v31, v18, vcc_lo
	s_wait_dscnt 0x1
	s_clause 0x1
	global_store_b64 v[13:14], v[0:1], off
	global_store_b64 v[4:5], v[2:3], off
	s_wait_dscnt 0x0
	s_clause 0x1
	global_store_b64 v[15:16], v[9:10], off
	global_store_b64 v[17:18], v[11:12], off
	v_lshlrev_b64_e32 v[4:5], 3, v[7:8]
	v_add_nc_u32_e32 v7, 0x4ec, v30
	v_add_co_u32 v17, vcc_lo, v29, v19
	s_wait_alu 0xfffd
	v_add_co_ci_u32_e32 v18, vcc_lo, v31, v20, vcc_lo
	s_delay_alu instid0(VALU_DEP_3)
	v_lshlrev_b64_e32 v[13:14], 3, v[7:8]
	v_add_nc_u32_e32 v7, 0x56a, v30
	v_add_co_u32 v4, vcc_lo, v29, v4
	v_add_nc_u32_e32 v9, 0x2400, v6
	s_wait_alu 0xfffd
	v_add_co_ci_u32_e32 v5, vcc_lo, v31, v5, vcc_lo
	v_lshlrev_b64_e32 v[15:16], 3, v[7:8]
	v_add_nc_u32_e32 v7, 0x5e8, v30
	v_add_co_u32 v19, vcc_lo, v29, v13
	v_add_nc_u32_e32 v13, 0x2c00, v6
	ds_load_2addr_b64 v[0:3], v21 offset0:112 offset1:238
	s_wait_alu 0xfffd
	v_add_co_ci_u32_e32 v20, vcc_lo, v31, v14, vcc_lo
	ds_load_2addr_b64 v[9:12], v9 offset0:108 offset1:234
	v_lshlrev_b64_e32 v[21:22], 3, v[7:8]
	v_add_nc_u32_e32 v7, 0x666, v30
	v_add_co_u32 v23, vcc_lo, v29, v15
	s_wait_alu 0xfffd
	v_add_co_ci_u32_e32 v24, vcc_lo, v31, v16, vcc_lo
	ds_load_2addr_b64 v[13:16], v13 offset0:104 offset1:230
	ds_load_b64 v[27:28], v6 offset:14112
	v_lshlrev_b64_e32 v[25:26], 3, v[7:8]
	v_add_nc_u32_e32 v7, 0x6e4, v30
	v_add_co_u32 v21, vcc_lo, v29, v21
	s_wait_alu 0xfffd
	v_add_co_ci_u32_e32 v22, vcc_lo, v31, v22, vcc_lo
	s_delay_alu instid0(VALU_DEP_3) | instskip(SKIP_3) | instid1(VALU_DEP_3)
	v_lshlrev_b64_e32 v[6:7], 3, v[7:8]
	v_add_co_u32 v25, vcc_lo, v29, v25
	s_wait_alu 0xfffd
	v_add_co_ci_u32_e32 v26, vcc_lo, v31, v26, vcc_lo
	v_add_co_u32 v6, vcc_lo, v29, v6
	s_wait_alu 0xfffd
	v_add_co_ci_u32_e32 v7, vcc_lo, v31, v7, vcc_lo
	s_wait_dscnt 0x3
	s_clause 0x1
	global_store_b64 v[17:18], v[0:1], off
	global_store_b64 v[4:5], v[2:3], off
	s_wait_dscnt 0x2
	s_clause 0x1
	global_store_b64 v[19:20], v[9:10], off
	global_store_b64 v[23:24], v[11:12], off
	;; [unrolled: 4-line block ×3, first 2 shown]
	s_wait_dscnt 0x0
	global_store_b64 v[6:7], v[27:28], off
.LBB0_27:
	s_nop 0
	s_sendmsg sendmsg(MSG_DEALLOC_VGPRS)
	s_endpgm
	.section	.rodata,"a",@progbits
	.p2align	6, 0x0
	.amdhsa_kernel fft_rtc_fwd_len1890_factors_2_3_3_3_7_5_wgs_126_tpt_126_halfLds_sp_ip_CI_unitstride_sbrr_C2R_dirReg
		.amdhsa_group_segment_fixed_size 0
		.amdhsa_private_segment_fixed_size 0
		.amdhsa_kernarg_size 88
		.amdhsa_user_sgpr_count 2
		.amdhsa_user_sgpr_dispatch_ptr 0
		.amdhsa_user_sgpr_queue_ptr 0
		.amdhsa_user_sgpr_kernarg_segment_ptr 1
		.amdhsa_user_sgpr_dispatch_id 0
		.amdhsa_user_sgpr_private_segment_size 0
		.amdhsa_wavefront_size32 1
		.amdhsa_uses_dynamic_stack 0
		.amdhsa_enable_private_segment 0
		.amdhsa_system_sgpr_workgroup_id_x 1
		.amdhsa_system_sgpr_workgroup_id_y 0
		.amdhsa_system_sgpr_workgroup_id_z 0
		.amdhsa_system_sgpr_workgroup_info 0
		.amdhsa_system_vgpr_workitem_id 0
		.amdhsa_next_free_vgpr 91
		.amdhsa_next_free_sgpr 32
		.amdhsa_reserve_vcc 1
		.amdhsa_float_round_mode_32 0
		.amdhsa_float_round_mode_16_64 0
		.amdhsa_float_denorm_mode_32 3
		.amdhsa_float_denorm_mode_16_64 3
		.amdhsa_fp16_overflow 0
		.amdhsa_workgroup_processor_mode 1
		.amdhsa_memory_ordered 1
		.amdhsa_forward_progress 0
		.amdhsa_round_robin_scheduling 0
		.amdhsa_exception_fp_ieee_invalid_op 0
		.amdhsa_exception_fp_denorm_src 0
		.amdhsa_exception_fp_ieee_div_zero 0
		.amdhsa_exception_fp_ieee_overflow 0
		.amdhsa_exception_fp_ieee_underflow 0
		.amdhsa_exception_fp_ieee_inexact 0
		.amdhsa_exception_int_div_zero 0
	.end_amdhsa_kernel
	.text
.Lfunc_end0:
	.size	fft_rtc_fwd_len1890_factors_2_3_3_3_7_5_wgs_126_tpt_126_halfLds_sp_ip_CI_unitstride_sbrr_C2R_dirReg, .Lfunc_end0-fft_rtc_fwd_len1890_factors_2_3_3_3_7_5_wgs_126_tpt_126_halfLds_sp_ip_CI_unitstride_sbrr_C2R_dirReg
                                        ; -- End function
	.section	.AMDGPU.csdata,"",@progbits
; Kernel info:
; codeLenInByte = 12296
; NumSgprs: 34
; NumVgprs: 91
; ScratchSize: 0
; MemoryBound: 0
; FloatMode: 240
; IeeeMode: 1
; LDSByteSize: 0 bytes/workgroup (compile time only)
; SGPRBlocks: 4
; VGPRBlocks: 11
; NumSGPRsForWavesPerEU: 34
; NumVGPRsForWavesPerEU: 91
; Occupancy: 16
; WaveLimiterHint : 1
; COMPUTE_PGM_RSRC2:SCRATCH_EN: 0
; COMPUTE_PGM_RSRC2:USER_SGPR: 2
; COMPUTE_PGM_RSRC2:TRAP_HANDLER: 0
; COMPUTE_PGM_RSRC2:TGID_X_EN: 1
; COMPUTE_PGM_RSRC2:TGID_Y_EN: 0
; COMPUTE_PGM_RSRC2:TGID_Z_EN: 0
; COMPUTE_PGM_RSRC2:TIDIG_COMP_CNT: 0
	.text
	.p2alignl 7, 3214868480
	.fill 96, 4, 3214868480
	.type	__hip_cuid_c4fd778de6d86227,@object ; @__hip_cuid_c4fd778de6d86227
	.section	.bss,"aw",@nobits
	.globl	__hip_cuid_c4fd778de6d86227
__hip_cuid_c4fd778de6d86227:
	.byte	0                               ; 0x0
	.size	__hip_cuid_c4fd778de6d86227, 1

	.ident	"AMD clang version 19.0.0git (https://github.com/RadeonOpenCompute/llvm-project roc-6.4.0 25133 c7fe45cf4b819c5991fe208aaa96edf142730f1d)"
	.section	".note.GNU-stack","",@progbits
	.addrsig
	.addrsig_sym __hip_cuid_c4fd778de6d86227
	.amdgpu_metadata
---
amdhsa.kernels:
  - .args:
      - .actual_access:  read_only
        .address_space:  global
        .offset:         0
        .size:           8
        .value_kind:     global_buffer
      - .offset:         8
        .size:           8
        .value_kind:     by_value
      - .actual_access:  read_only
        .address_space:  global
        .offset:         16
        .size:           8
        .value_kind:     global_buffer
      - .actual_access:  read_only
        .address_space:  global
        .offset:         24
        .size:           8
        .value_kind:     global_buffer
      - .offset:         32
        .size:           8
        .value_kind:     by_value
      - .actual_access:  read_only
        .address_space:  global
        .offset:         40
        .size:           8
        .value_kind:     global_buffer
      - .actual_access:  read_only
        .address_space:  global
        .offset:         48
        .size:           8
        .value_kind:     global_buffer
      - .offset:         56
        .size:           4
        .value_kind:     by_value
      - .actual_access:  read_only
        .address_space:  global
        .offset:         64
        .size:           8
        .value_kind:     global_buffer
      - .actual_access:  read_only
        .address_space:  global
        .offset:         72
        .size:           8
        .value_kind:     global_buffer
      - .address_space:  global
        .offset:         80
        .size:           8
        .value_kind:     global_buffer
    .group_segment_fixed_size: 0
    .kernarg_segment_align: 8
    .kernarg_segment_size: 88
    .language:       OpenCL C
    .language_version:
      - 2
      - 0
    .max_flat_workgroup_size: 126
    .name:           fft_rtc_fwd_len1890_factors_2_3_3_3_7_5_wgs_126_tpt_126_halfLds_sp_ip_CI_unitstride_sbrr_C2R_dirReg
    .private_segment_fixed_size: 0
    .sgpr_count:     34
    .sgpr_spill_count: 0
    .symbol:         fft_rtc_fwd_len1890_factors_2_3_3_3_7_5_wgs_126_tpt_126_halfLds_sp_ip_CI_unitstride_sbrr_C2R_dirReg.kd
    .uniform_work_group_size: 1
    .uses_dynamic_stack: false
    .vgpr_count:     91
    .vgpr_spill_count: 0
    .wavefront_size: 32
    .workgroup_processor_mode: 1
amdhsa.target:   amdgcn-amd-amdhsa--gfx1201
amdhsa.version:
  - 1
  - 2
...

	.end_amdgpu_metadata
